;; amdgpu-corpus repo=ROCm/rocFFT kind=compiled arch=gfx906 opt=O3
	.text
	.amdgcn_target "amdgcn-amd-amdhsa--gfx906"
	.amdhsa_code_object_version 6
	.protected	bluestein_single_fwd_len1080_dim1_half_op_CI_CI ; -- Begin function bluestein_single_fwd_len1080_dim1_half_op_CI_CI
	.globl	bluestein_single_fwd_len1080_dim1_half_op_CI_CI
	.p2align	8
	.type	bluestein_single_fwd_len1080_dim1_half_op_CI_CI,@function
bluestein_single_fwd_len1080_dim1_half_op_CI_CI: ; @bluestein_single_fwd_len1080_dim1_half_op_CI_CI
; %bb.0:
	s_load_dwordx4 s[8:11], s[4:5], 0x28
	v_mul_u32_u24_e32 v1, 0x25f, v0
	v_lshrrev_b32_e32 v2, 16, v1
	v_lshl_add_u32 v18, s6, 1, v2
	v_mov_b32_e32 v19, 0
	s_waitcnt lgkmcnt(0)
	v_cmp_gt_u64_e32 vcc, s[8:9], v[18:19]
	s_and_saveexec_b64 s[0:1], vcc
	s_cbranch_execz .LBB0_31
; %bb.1:
	s_load_dwordx4 s[0:3], s[4:5], 0x18
	s_load_dwordx2 s[16:17], s[4:5], 0x0
	v_mul_lo_u16_e32 v1, 0x6c, v2
	v_sub_u16_e32 v41, v0, v1
	v_lshlrev_b32_e32 v50, 2, v41
	s_waitcnt lgkmcnt(0)
	s_load_dwordx4 s[12:15], s[0:1], 0x0
	global_load_dword v42, v50, s[16:17]
	v_mov_b32_e32 v9, 0x438
	v_add_co_u32_e64 v16, s[6:7], s16, v50
	s_waitcnt lgkmcnt(0)
	v_mad_u64_u32 v[0:1], s[0:1], s14, v18, 0
	v_mad_u64_u32 v[3:4], s[0:1], s12, v41, 0
	v_mad_u64_u32 v[5:6], s[0:1], s15, v18, v[1:2]
	v_and_b32_e32 v2, 1, v2
	s_load_dwordx2 s[14:15], s[4:5], 0x38
	v_mad_u64_u32 v[6:7], s[0:1], s13, v41, v[4:5]
	v_mov_b32_e32 v1, v5
	v_lshlrev_b64 v[0:1], 2, v[0:1]
	v_mov_b32_e32 v7, s11
	v_mov_b32_e32 v4, v6
	v_add_co_u32_e32 v5, vcc, s10, v0
	v_addc_co_u32_e32 v6, vcc, v7, v1, vcc
	v_lshlrev_b64 v[0:1], 2, v[3:4]
	s_mul_i32 s0, s13, 0xb4
	s_mul_hi_u32 s1, s12, 0xb4
	v_add_co_u32_e32 v0, vcc, v5, v0
	s_add_i32 s1, s1, s0
	s_mul_i32 s0, s12, 0xb4
	v_addc_co_u32_e32 v1, vcc, v6, v1, vcc
	s_lshl_b64 s[18:19], s[0:1], 2
	global_load_dword v3, v[0:1], off
	v_mov_b32_e32 v4, s19
	v_add_co_u32_e32 v0, vcc, s18, v0
	v_addc_co_u32_e32 v1, vcc, v1, v4, vcc
	global_load_dword v5, v[0:1], off
	global_load_dword v40, v50, s[16:17] offset:720
	v_add_co_u32_e32 v0, vcc, s18, v0
	v_addc_co_u32_e32 v1, vcc, v1, v4, vcc
	global_load_dword v6, v[0:1], off
	global_load_dword v39, v50, s[16:17] offset:1440
	;; [unrolled: 4-line block ×5, first 2 shown]
	v_cmp_eq_u32_e32 vcc, 1, v2
	v_cndmask_b32_e32 v53, 0, v9, vcc
	v_mov_b32_e32 v9, s17
	v_addc_co_u32_e64 v17, vcc, 0, v9, s[6:7]
	v_lshlrev_b32_e32 v43, 2, v53
	v_add_u32_e32 v35, v43, v50
	v_add_u32_e32 v2, 0x500, v35
	s_load_dwordx4 s[8:11], s[2:3], 0x0
	s_movk_i32 s0, 0x48
	v_cmp_gt_u16_e64 s[0:1], s0, v41
	s_waitcnt vmcnt(10)
	v_lshrrev_b32_e32 v9, 16, v3
	v_mul_f16_sdwa v10, v42, v3 dst_sel:DWORD dst_unused:UNUSED_PAD src0_sel:WORD_1 src1_sel:DWORD
	v_mul_f16_sdwa v11, v42, v9 dst_sel:DWORD dst_unused:UNUSED_PAD src0_sel:WORD_1 src1_sel:DWORD
	v_fma_f16 v9, v42, v9, -v10
	v_fma_f16 v3, v42, v3, v11
	s_waitcnt vmcnt(9)
	v_lshrrev_b32_e32 v10, 16, v5
	s_waitcnt vmcnt(8)
	v_mul_f16_sdwa v12, v40, v5 dst_sel:DWORD dst_unused:UNUSED_PAD src0_sel:WORD_1 src1_sel:DWORD
	v_mul_f16_sdwa v11, v40, v10 dst_sel:DWORD dst_unused:UNUSED_PAD src0_sel:WORD_1 src1_sel:DWORD
	v_fma_f16 v10, v40, v10, -v12
	v_pack_b32_f16 v3, v3, v9
	s_waitcnt vmcnt(7)
	v_lshrrev_b32_e32 v12, 16, v6
	s_waitcnt vmcnt(6)
	v_mul_f16_sdwa v13, v39, v6 dst_sel:DWORD dst_unused:UNUSED_PAD src0_sel:WORD_1 src1_sel:DWORD
	v_fma_f16 v5, v40, v5, v11
	v_mul_f16_sdwa v9, v39, v12 dst_sel:DWORD dst_unused:UNUSED_PAD src0_sel:WORD_1 src1_sel:DWORD
	v_fma_f16 v11, v39, v12, -v13
	s_waitcnt vmcnt(5)
	v_lshrrev_b32_e32 v12, 16, v7
	s_waitcnt vmcnt(4)
	v_mul_f16_sdwa v13, v38, v7 dst_sel:DWORD dst_unused:UNUSED_PAD src0_sel:WORD_1 src1_sel:DWORD
	v_pack_b32_f16 v5, v5, v10
	v_fma_f16 v6, v39, v6, v9
	v_mul_f16_sdwa v9, v38, v12 dst_sel:DWORD dst_unused:UNUSED_PAD src0_sel:WORD_1 src1_sel:DWORD
	v_fma_f16 v10, v38, v12, -v13
	s_waitcnt vmcnt(3)
	v_lshrrev_b32_e32 v12, 16, v8
	ds_write2_b32 v35, v3, v5 offset1:180
	v_fma_f16 v5, v38, v7, v9
	s_waitcnt vmcnt(2)
	v_mul_f16_sdwa v13, v37, v8 dst_sel:DWORD dst_unused:UNUSED_PAD src0_sel:WORD_1 src1_sel:DWORD
	v_pack_b32_f16 v3, v6, v11
	v_mul_f16_sdwa v6, v37, v12 dst_sel:DWORD dst_unused:UNUSED_PAD src0_sel:WORD_1 src1_sel:DWORD
	v_pack_b32_f16 v5, v5, v10
	v_fma_f16 v7, v37, v12, -v13
	v_fma_f16 v6, v37, v8, v6
	ds_write2_b32 v2, v3, v5 offset0:40 offset1:220
	s_waitcnt vmcnt(1)
	v_lshrrev_b32_e32 v3, 16, v4
	v_pack_b32_f16 v5, v6, v7
	s_waitcnt vmcnt(0)
	v_mul_f16_sdwa v6, v36, v3 dst_sel:DWORD dst_unused:UNUSED_PAD src0_sel:WORD_1 src1_sel:DWORD
	v_fma_f16 v6, v36, v4, v6
	v_mul_f16_sdwa v4, v36, v4 dst_sel:DWORD dst_unused:UNUSED_PAD src0_sel:WORD_1 src1_sel:DWORD
	v_fma_f16 v3, v36, v3, -v4
	v_pack_b32_f16 v4, v6, v3
	v_add_u32_e32 v3, 0xb00, v35
	ds_write2_b32 v3, v5, v4 offset0:16 offset1:196
	s_and_saveexec_b64 s[2:3], s[0:1]
	s_cbranch_execz .LBB0_3
; %bb.2:
	v_mov_b32_e32 v4, 0xfffff3a0
	v_mad_u64_u32 v[0:1], s[20:21], s12, v4, v[0:1]
	s_mulk_i32 s13, 0xf3a0
	s_sub_i32 s12, s13, s12
	v_add_u32_e32 v1, s12, v1
	global_load_dword v4, v[0:1], off
	global_load_dword v5, v[16:17], off offset:432
	v_mov_b32_e32 v6, s19
	v_add_co_u32_e32 v0, vcc, s18, v0
	v_addc_co_u32_e32 v1, vcc, v1, v6, vcc
	global_load_dword v7, v[0:1], off
	global_load_dword v8, v[16:17], off offset:1152
	v_add_co_u32_e32 v0, vcc, s18, v0
	v_addc_co_u32_e32 v1, vcc, v1, v6, vcc
	global_load_dword v9, v[0:1], off
	global_load_dword v10, v[16:17], off offset:1872
	;; [unrolled: 4-line block ×5, first 2 shown]
	v_add_u32_e32 v0, 0x100, v35
	v_add_u32_e32 v1, 0x700, v35
	s_waitcnt vmcnt(11)
	v_lshrrev_b32_e32 v19, 16, v4
	s_waitcnt vmcnt(10)
	v_mul_f16_sdwa v20, v5, v4 dst_sel:DWORD dst_unused:UNUSED_PAD src0_sel:WORD_1 src1_sel:DWORD
	v_mul_f16_sdwa v21, v5, v19 dst_sel:DWORD dst_unused:UNUSED_PAD src0_sel:WORD_1 src1_sel:DWORD
	v_fma_f16 v19, v5, v19, -v20
	v_fma_f16 v4, v5, v4, v21
	v_pack_b32_f16 v4, v4, v19
	s_waitcnt vmcnt(9)
	v_lshrrev_b32_e32 v20, 16, v7
	s_waitcnt vmcnt(8)
	v_mul_f16_sdwa v22, v8, v7 dst_sel:DWORD dst_unused:UNUSED_PAD src0_sel:WORD_1 src1_sel:DWORD
	v_mul_f16_sdwa v5, v8, v20 dst_sel:DWORD dst_unused:UNUSED_PAD src0_sel:WORD_1 src1_sel:DWORD
	v_fma_f16 v20, v8, v20, -v22
	v_fma_f16 v5, v8, v7, v5
	s_waitcnt vmcnt(7)
	v_lshrrev_b32_e32 v21, 16, v9
	s_waitcnt vmcnt(6)
	v_mul_f16_sdwa v22, v10, v9 dst_sel:DWORD dst_unused:UNUSED_PAD src0_sel:WORD_1 src1_sel:DWORD
	v_mul_f16_sdwa v7, v10, v21 dst_sel:DWORD dst_unused:UNUSED_PAD src0_sel:WORD_1 src1_sel:DWORD
	v_fma_f16 v8, v10, v21, -v22
	v_pack_b32_f16 v5, v5, v20
	s_waitcnt vmcnt(5)
	v_lshrrev_b32_e32 v19, 16, v11
	s_waitcnt vmcnt(4)
	v_mul_f16_sdwa v21, v12, v11 dst_sel:DWORD dst_unused:UNUSED_PAD src0_sel:WORD_1 src1_sel:DWORD
	v_fma_f16 v7, v10, v9, v7
	v_mul_f16_sdwa v9, v12, v19 dst_sel:DWORD dst_unused:UNUSED_PAD src0_sel:WORD_1 src1_sel:DWORD
	v_fma_f16 v10, v12, v19, -v21
	s_waitcnt vmcnt(3)
	v_lshrrev_b32_e32 v19, 16, v13
	ds_write2_b32 v0, v4, v5 offset0:44 offset1:224
	v_pack_b32_f16 v0, v7, v8
	v_fma_f16 v4, v12, v11, v9
	s_waitcnt vmcnt(2)
	v_mul_f16_sdwa v20, v14, v13 dst_sel:DWORD dst_unused:UNUSED_PAD src0_sel:WORD_1 src1_sel:DWORD
	s_waitcnt vmcnt(1)
	v_lshrrev_b32_e32 v8, 16, v6
	v_mul_f16_sdwa v5, v14, v19 dst_sel:DWORD dst_unused:UNUSED_PAD src0_sel:WORD_1 src1_sel:DWORD
	s_waitcnt vmcnt(0)
	v_mul_f16_sdwa v9, v15, v6 dst_sel:DWORD dst_unused:UNUSED_PAD src0_sel:WORD_1 src1_sel:DWORD
	v_pack_b32_f16 v4, v4, v10
	v_mul_f16_sdwa v10, v15, v8 dst_sel:DWORD dst_unused:UNUSED_PAD src0_sel:WORD_1 src1_sel:DWORD
	v_fma_f16 v7, v14, v19, -v20
	v_fma_f16 v5, v14, v13, v5
	v_fma_f16 v8, v15, v8, -v9
	ds_write2_b32 v1, v0, v4 offset0:20 offset1:200
	v_fma_f16 v1, v15, v6, v10
	v_pack_b32_f16 v0, v5, v7
	v_pack_b32_f16 v1, v1, v8
	v_add_u32_e32 v4, 0xc00, v35
	ds_write2_b32 v4, v0, v1 offset0:60 offset1:240
.LBB0_3:
	s_or_b64 exec, exec, s[2:3]
	s_waitcnt lgkmcnt(0)
	s_barrier
	ds_read2_b32 v[10:11], v35 offset1:180
	ds_read2_b32 v[6:7], v2 offset0:40 offset1:220
	ds_read2_b32 v[8:9], v3 offset0:16 offset1:196
	s_load_dwordx2 s[4:5], s[4:5], 0x8
                                        ; implicit-def: $vgpr0
                                        ; implicit-def: $vgpr4
                                        ; implicit-def: $vgpr2
	s_and_saveexec_b64 s[2:3], s[0:1]
	s_cbranch_execz .LBB0_5
; %bb.4:
	v_add_u32_e32 v2, 0x700, v35
	v_add_u32_e32 v0, 0x100, v35
	ds_read2_b32 v[4:5], v2 offset0:20 offset1:200
	v_add_u32_e32 v2, 0xc00, v35
	ds_read2_b32 v[0:1], v0 offset0:44 offset1:224
	ds_read2_b32 v[2:3], v2 offset0:60 offset1:240
.LBB0_5:
	s_or_b64 exec, exec, s[2:3]
	s_waitcnt lgkmcnt(0)
	v_pk_add_f16 v26, v6, v8
	v_pk_add_f16 v23, v10, v6
	v_pk_fma_f16 v10, v26, 0.5, v10 op_sel_hi:[1,0,1] neg_lo:[1,0,0] neg_hi:[1,0,0]
	v_pk_add_f16 v26, v7, v9
	v_pk_add_f16 v24, v11, v7
	s_movk_i32 s2, 0x3aee
	v_pk_fma_f16 v11, v26, 0.5, v11 op_sel_hi:[1,0,1] neg_lo:[1,0,0] neg_hi:[1,0,0]
	v_pk_add_f16 v7, v7, v9 neg_lo:[0,1] neg_hi:[0,1]
	v_pk_add_f16 v15, v5, v3
	v_pk_add_f16 v24, v24, v9
	v_pk_fma_f16 v9, v7, s2, v11 op_sel:[0,0,1] op_sel_hi:[1,0,0]
	v_pk_fma_f16 v7, v7, s2, v11 op_sel:[0,0,1] op_sel_hi:[1,0,0] neg_lo:[1,0,0] neg_hi:[1,0,0]
	s_mov_b32 s3, 0xffff
	v_pk_fma_f16 v15, v15, 0.5, v1 op_sel_hi:[1,0,1] neg_lo:[1,0,0] neg_hi:[1,0,0]
	v_pk_add_f16 v19, v5, v3 neg_lo:[0,1] neg_hi:[0,1]
	v_pk_add_f16 v6, v6, v8 neg_lo:[0,1] neg_hi:[0,1]
	v_lshrrev_b32_e32 v26, 16, v9
	v_mul_f16_e32 v11, 0x3aee, v7
	v_pk_add_f16 v12, v4, v2
	v_pk_fma_f16 v20, v19, s2, v15 op_sel:[0,0,1] op_sel_hi:[1,0,0]
	v_pk_fma_f16 v19, v19, s2, v15 op_sel:[0,0,1] op_sel_hi:[1,0,0] neg_lo:[1,0,0] neg_hi:[1,0,0]
	v_mul_lo_u16_e32 v25, 6, v41
	v_pk_mul_f16 v6, v6, s2 op_sel_hi:[1,0]
	v_bfi_b32 v9, s3, v9, v7
	v_fma_f16 v11, v26, 0.5, v11
	v_mul_f16_e32 v26, 0xbaee, v26
	v_pk_fma_f16 v13, v12, 0.5, v0 op_sel_hi:[1,0,1] neg_lo:[1,0,0] neg_hi:[1,0,0]
	v_pk_add_f16 v12, v4, v2 neg_lo:[0,1] neg_hi:[0,1]
	v_lshrrev_b32_e32 v21, 16, v20
	v_mul_f16_e32 v15, 0x3aee, v19
	s_mov_b32 s12, 0xbaee3aee
	v_lshl_add_u32 v44, v25, 2, v43
	v_pk_add_f16 v25, v23, v8
	v_pk_add_f16 v8, v10, v6 op_sel:[0,1] op_sel_hi:[1,0]
	v_pk_add_f16 v10, v10, v6 op_sel:[0,1] op_sel_hi:[1,0] neg_lo:[0,1] neg_hi:[0,1]
	v_fma_f16 v26, v7, 0.5, v26
	v_pk_mul_f16 v7, v9, 0.5 op_sel_hi:[1,0]
	v_pk_mul_f16 v14, v12, s2 op_sel_hi:[1,0]
	v_bfi_b32 v20, s3, v20, v19
	v_fma_f16 v15, v21, 0.5, v15
	v_mul_f16_e32 v21, 0xbaee, v21
	v_bfi_b32 v6, s3, v10, v8
	v_add_f16_e32 v27, v8, v11
	v_pk_fma_f16 v9, v9, s12, v7 op_sel:[0,0,1] op_sel_hi:[1,1,0] neg_lo:[0,0,1] neg_hi:[0,0,1]
	v_add_f16_sdwa v28, v10, v26 dst_sel:DWORD dst_unused:UNUSED_PAD src0_sel:WORD_1 src1_sel:DWORD
	v_pk_add_f16 v12, v13, v14 op_sel:[0,1] op_sel_hi:[1,0]
	v_pk_add_f16 v13, v13, v14 op_sel:[0,1] op_sel_hi:[1,0] neg_lo:[0,1] neg_hi:[0,1]
	v_fma_f16 v21, v19, 0.5, v21
	v_pk_mul_f16 v19, v20, 0.5 op_sel_hi:[1,0]
	v_pk_add_f16 v23, v25, v24
	v_pk_add_f16 v7, v25, v24 neg_lo:[0,1] neg_hi:[0,1]
	v_pk_add_f16 v6, v6, v9
	v_pack_b32_f16 v24, v27, v28
	v_bfi_b32 v14, s3, v13, v12
	v_pk_fma_f16 v22, v20, s12, v19 op_sel:[0,0,1] op_sel_hi:[1,1,0] neg_lo:[0,0,1] neg_hi:[0,0,1]
	s_barrier
	ds_write2_b64 v44, v[23:24], v[6:7] offset1:1
	v_pack_b32_f16 v6, v26, v9
	v_add_co_u32_e32 v55, vcc, 0x6c, v41
	v_pk_add_f16 v20, v14, v22 neg_lo:[0,1] neg_hi:[0,1]
	v_sub_f16_e32 v11, v8, v11
	v_sub_f16_sdwa v8, v8, v9 dst_sel:DWORD dst_unused:UNUSED_PAD src0_sel:WORD_1 src1_sel:WORD_1
	v_pk_add_f16 v6, v10, v6 op_sel:[1,0] op_sel_hi:[0,1] neg_lo:[0,1] neg_hi:[0,1]
	v_sub_f16_e32 v19, v12, v15
	v_sub_f16_sdwa v31, v13, v21 dst_sel:DWORD dst_unused:UNUSED_PAD src0_sel:WORD_1 src1_sel:DWORD
	v_lshrrev_b32_e32 v32, 16, v20
	v_alignbit_b32 v7, v8, v6, 16
	v_pack_b32_f16 v6, v11, v6
	v_mul_u32_u24_e32 v47, 6, v55
	ds_write_b64 v44, v[6:7] offset:16
	s_and_saveexec_b64 s[2:3], s[0:1]
	s_cbranch_execz .LBB0_7
; %bb.6:
	v_pk_add_f16 v4, v0, v4
	v_pk_add_f16 v1, v1, v5
	v_add_f16_sdwa v5, v13, v21 dst_sel:DWORD dst_unused:UNUSED_PAD src0_sel:WORD_1 src1_sel:DWORD
	v_add_f16_e32 v6, v12, v15
	v_pk_add_f16 v4, v4, v2
	v_pk_add_f16 v1, v1, v3
	;; [unrolled: 1-line block ×3, first 2 shown]
	v_lshl_add_u32 v7, v47, 2, v43
	v_pk_add_f16 v2, v4, v1
	v_pk_add_f16 v1, v4, v1 neg_lo:[0,1] neg_hi:[0,1]
	v_pack_b32_f16 v3, v6, v5
	s_mov_b32 s12, 0x5040100
	ds_write2_b64 v7, v[2:3], v[0:1] offset1:1
	v_perm_b32 v1, v32, v20, s12
	v_perm_b32 v0, v31, v19, s12
	ds_write_b64 v7, v[0:1] offset:16
.LBB0_7:
	s_or_b64 exec, exec, s[2:3]
	s_movk_i32 s2, 0xab
	v_mul_lo_u16_sdwa v0, v41, s2 dst_sel:DWORD dst_unused:UNUSED_PAD src0_sel:BYTE_0 src1_sel:DWORD
	v_lshrrev_b16_e32 v15, 10, v0
	v_mul_lo_u16_e32 v0, 6, v15
	v_sub_u16_e32 v0, v41, v0
	v_and_b32_e32 v25, 0xff, v0
	v_mad_u64_u32 v[8:9], s[2:3], v25, 36, s[4:5]
	s_waitcnt lgkmcnt(0)
	s_barrier
	global_load_dwordx4 v[0:3], v[8:9], off
	global_load_dwordx4 v[4:7], v[8:9], off offset:16
	global_load_dword v48, v[8:9], off offset:32
	v_add_u32_e32 v11, 0x200, v35
	v_add_u32_e32 v13, 0x600, v35
	;; [unrolled: 1-line block ×3, first 2 shown]
	ds_read2_b32 v[9:10], v35 offset1:108
	v_add_u32_e32 v8, 0xc00, v35
	ds_read2_b32 v[11:12], v11 offset0:88 offset1:196
	ds_read2_b32 v[13:14], v13 offset0:48 offset1:156
	;; [unrolled: 1-line block ×4, first 2 shown]
	s_movk_i32 s13, 0x3b9c
	s_waitcnt lgkmcnt(3)
	v_lshrrev_b32_e32 v28, 16, v11
	s_waitcnt lgkmcnt(2)
	v_lshrrev_b32_e32 v30, 16, v13
	;; [unrolled: 2-line block ×4, first 2 shown]
	v_lshrrev_b32_e32 v27, 16, v10
	v_lshrrev_b32_e32 v29, 16, v12
	s_mov_b32 s3, 0xbb9c
	s_movk_i32 s16, 0x38b4
	s_mov_b32 s2, 0xb8b4
	v_lshrrev_b32_e32 v26, 16, v9
	v_lshrrev_b32_e32 v33, 16, v14
	s_movk_i32 s12, 0x34f2
	v_lshrrev_b32_e32 v45, 16, v22
	v_lshrrev_b32_e32 v49, 16, v24
	s_movk_i32 s18, 0x3a79
	s_waitcnt vmcnt(0)
	s_barrier
	v_mul_f16_sdwa v59, v30, v3 dst_sel:DWORD dst_unused:UNUSED_PAD src0_sel:DWORD src1_sel:WORD_1
	v_mul_f16_sdwa v63, v34, v5 dst_sel:DWORD dst_unused:UNUSED_PAD src0_sel:DWORD src1_sel:WORD_1
	;; [unrolled: 1-line block ×9, first 2 shown]
	v_fma_f16 v13, v13, v3, -v59
	v_fma_f16 v21, v21, v5, -v63
	v_mul_f16_sdwa v51, v27, v0 dst_sel:DWORD dst_unused:UNUSED_PAD src0_sel:DWORD src1_sel:WORD_1
	v_mul_f16_sdwa v57, v29, v2 dst_sel:DWORD dst_unused:UNUSED_PAD src0_sel:DWORD src1_sel:WORD_1
	;; [unrolled: 1-line block ×3, first 2 shown]
	v_fma_f16 v11, v11, v1, -v54
	v_fma_f16 v27, v27, v0, v52
	v_fma_f16 v28, v28, v1, v56
	v_fma_f16 v23, v23, v7, -v67
	v_fma_f16 v46, v46, v7, v68
	v_add_f16_e32 v52, v13, v21
	v_fma_f16 v12, v12, v2, -v57
	v_fma_f16 v29, v29, v2, v58
	v_fma_f16 v30, v30, v3, v60
	;; [unrolled: 1-line block ×3, first 2 shown]
	v_sub_f16_e32 v54, v28, v46
	v_sub_f16_e32 v57, v11, v13
	;; [unrolled: 1-line block ×3, first 2 shown]
	v_add_f16_e32 v59, v11, v23
	v_fma_f16 v52, v52, -0.5, v9
	v_fma_f16 v10, v10, v0, -v51
	v_add_f16_e32 v51, v9, v11
	v_sub_f16_e32 v56, v30, v34
	v_add_f16_e32 v57, v57, v58
	v_fma_f16 v9, v59, -0.5, v9
	v_fma_f16 v58, v54, s13, v52
	v_fma_f16 v52, v54, s3, v52
	v_mul_f16_sdwa v61, v33, v4 dst_sel:DWORD dst_unused:UNUSED_PAD src0_sel:DWORD src1_sel:WORD_1
	v_add_f16_e32 v51, v51, v13
	v_fma_f16 v59, v56, s3, v9
	v_fma_f16 v58, v56, s16, v58
	;; [unrolled: 1-line block ×4, first 2 shown]
	v_add_f16_e32 v56, v30, v34
	v_mul_f16_sdwa v62, v14, v4 dst_sel:DWORD dst_unused:UNUSED_PAD src0_sel:DWORD src1_sel:WORD_1
	v_fma_f16 v14, v14, v4, -v61
	v_sub_f16_e32 v60, v13, v11
	v_sub_f16_e32 v61, v21, v23
	v_add_f16_e32 v51, v51, v21
	v_fma_f16 v56, v56, -0.5, v26
	v_sub_f16_e32 v11, v11, v23
	v_add_f16_e32 v51, v51, v23
	v_fma_f16 v59, v54, s16, v59
	v_fma_f16 v58, v57, s12, v58
	;; [unrolled: 1-line block ×3, first 2 shown]
	v_add_f16_e32 v57, v60, v61
	v_fma_f16 v9, v54, s2, v9
	v_fma_f16 v23, v11, s3, v56
	v_sub_f16_e32 v13, v13, v21
	v_fma_f16 v59, v57, s12, v59
	v_fma_f16 v9, v57, s12, v9
	v_fma_f16 v21, v13, s2, v23
	v_sub_f16_e32 v23, v28, v30
	v_sub_f16_e32 v57, v46, v34
	v_add_f16_e32 v23, v23, v57
	v_fma_f16 v57, v23, s12, v21
	v_fma_f16 v21, v11, s13, v56
	;; [unrolled: 1-line block ×4, first 2 shown]
	v_add_f16_e32 v21, v28, v46
	v_mul_f16_sdwa v65, v45, v6 dst_sel:DWORD dst_unused:UNUSED_PAD src0_sel:DWORD src1_sel:WORD_1
	v_fma_f16 v21, v21, -0.5, v26
	v_mul_f16_sdwa v66, v22, v6 dst_sel:DWORD dst_unused:UNUSED_PAD src0_sel:DWORD src1_sel:WORD_1
	v_mul_f16_sdwa v70, v24, v48 dst_sel:DWORD dst_unused:UNUSED_PAD src0_sel:DWORD src1_sel:WORD_1
	v_fma_f16 v22, v22, v6, -v65
	v_add_f16_e32 v54, v26, v28
	v_fma_f16 v23, v13, s13, v21
	v_sub_f16_e32 v26, v30, v28
	v_sub_f16_e32 v28, v34, v46
	v_mul_f16_sdwa v69, v49, v48 dst_sel:DWORD dst_unused:UNUSED_PAD src0_sel:DWORD src1_sel:WORD_1
	v_fma_f16 v49, v49, v48, v70
	v_add_f16_e32 v54, v54, v30
	v_fma_f16 v23, v11, s2, v23
	v_add_f16_e32 v26, v26, v28
	;; [unrolled: 2-line block ×3, first 2 shown]
	v_fma_f16 v33, v33, v4, v62
	v_fma_f16 v45, v45, v6, v66
	v_fma_f16 v24, v24, v48, -v69
	v_add_f16_e32 v54, v54, v34
	v_fma_f16 v28, v26, s12, v23
	v_fma_f16 v11, v11, s16, v13
	v_fma_f16 v21, v21, -0.5, v10
	v_sub_f16_e32 v23, v29, v49
	v_add_f16_e32 v54, v54, v46
	v_fma_f16 v11, v26, s12, v11
	v_fma_f16 v26, v23, s13, v21
	v_sub_f16_e32 v30, v33, v45
	v_sub_f16_e32 v34, v12, v14
	;; [unrolled: 1-line block ×3, first 2 shown]
	v_fma_f16 v21, v23, s3, v21
	v_fma_f16 v26, v30, s16, v26
	v_add_f16_e32 v34, v34, v46
	v_fma_f16 v21, v30, s2, v21
	v_fma_f16 v26, v34, s12, v26
	;; [unrolled: 1-line block ×3, first 2 shown]
	v_add_f16_e32 v34, v12, v24
	v_add_f16_e32 v13, v10, v12
	v_fma_f16 v10, v34, -0.5, v10
	v_fma_f16 v34, v30, s3, v10
	v_fma_f16 v10, v30, s13, v10
	;; [unrolled: 1-line block ×4, first 2 shown]
	v_add_f16_e32 v23, v27, v29
	v_add_f16_e32 v23, v23, v33
	;; [unrolled: 1-line block ×7, first 2 shown]
	v_sub_f16_e32 v46, v14, v12
	v_sub_f16_e32 v60, v22, v24
	v_fma_f16 v23, v23, -0.5, v27
	v_sub_f16_e32 v12, v12, v24
	v_add_f16_e32 v13, v13, v24
	v_add_f16_e32 v46, v46, v60
	v_fma_f16 v24, v12, s3, v23
	v_sub_f16_e32 v14, v14, v22
	v_fma_f16 v34, v46, s12, v34
	v_fma_f16 v10, v46, s12, v10
	;; [unrolled: 1-line block ×3, first 2 shown]
	v_sub_f16_e32 v24, v29, v33
	v_sub_f16_e32 v46, v49, v45
	v_fma_f16 v23, v12, s13, v23
	v_add_f16_e32 v24, v24, v46
	v_fma_f16 v23, v14, s16, v23
	v_fma_f16 v22, v24, s12, v22
	;; [unrolled: 1-line block ×3, first 2 shown]
	v_add_f16_e32 v24, v29, v49
	v_fma_f16 v24, v24, -0.5, v27
	v_fma_f16 v27, v14, s13, v24
	v_sub_f16_e32 v29, v33, v29
	v_sub_f16_e32 v33, v45, v49
	v_fma_f16 v14, v14, s3, v24
	v_fma_f16 v27, v12, s2, v27
	v_add_f16_e32 v29, v29, v33
	v_fma_f16 v12, v12, s16, v14
	v_fma_f16 v12, v29, s12, v12
	v_mul_f16_e32 v24, 0x38b4, v22
	v_mul_f16_e32 v46, 0x34f2, v10
	v_fma_f16 v24, v26, s18, v24
	v_fma_f16 v46, v12, s13, -v46
	v_mul_f16_e32 v26, 0xb8b4, v26
	v_mul_f16_e32 v12, 0x34f2, v12
	v_fma_f16 v27, v29, s12, v27
	v_mul_f16_e32 v49, 0x3a79, v21
	v_fma_f16 v26, v22, s18, v26
	v_mul_f16_e32 v22, 0xbb9c, v34
	v_fma_f16 v10, v10, s3, -v12
	v_mul_f16_e32 v33, 0x3b9c, v27
	v_add_f16_e32 v60, v9, v46
	v_fma_f16 v49, v23, s16, -v49
	v_add_f16_e32 v62, v54, v30
	v_fma_f16 v27, v27, s12, v22
	v_mul_f16_e32 v22, 0x3a79, v23
	v_add_f16_e32 v65, v11, v10
	v_sub_f16_e32 v23, v9, v46
	v_sub_f16_e32 v9, v54, v30
	v_sub_f16_e32 v54, v11, v10
	v_mul_u32_u24_e32 v10, 60, v15
	v_add_f16_e32 v14, v51, v13
	v_add_f16_e32 v29, v58, v24
	v_fma_f16 v33, v34, s12, v33
	v_add_f16_e32 v63, v57, v26
	v_add_u32_e32 v10, v10, v25
	v_add_f16_e32 v45, v59, v33
	v_add_f16_e32 v61, v52, v49
	;; [unrolled: 1-line block ×3, first 2 shown]
	v_fma_f16 v64, v21, s2, -v22
	v_sub_f16_e32 v21, v58, v24
	v_sub_f16_e32 v24, v52, v49
	v_lshl_add_u32 v49, v10, 2, v43
	v_pack_b32_f16 v10, v14, v62
	v_pack_b32_f16 v11, v29, v63
	v_sub_f16_e32 v13, v51, v13
	v_add_f16_e32 v51, v56, v64
	ds_write2_b32 v49, v10, v11 offset1:6
	v_pack_b32_f16 v10, v45, v12
	v_pack_b32_f16 v11, v60, v65
	v_sub_f16_e32 v22, v59, v33
	v_sub_f16_e32 v33, v57, v26
	v_sub_f16_e32 v34, v28, v27
	ds_write2_b32 v49, v10, v11 offset0:12 offset1:18
	v_pack_b32_f16 v10, v61, v51
	v_pack_b32_f16 v9, v13, v9
	v_sub_f16_e32 v56, v56, v64
	ds_write2_b32 v49, v10, v9 offset0:24 offset1:30
	v_pack_b32_f16 v9, v21, v33
	v_pack_b32_f16 v10, v22, v34
	ds_write2_b32 v49, v9, v10 offset0:36 offset1:42
	v_pack_b32_f16 v9, v23, v54
	v_pack_b32_f16 v10, v24, v56
	ds_write2_b32 v49, v9, v10 offset0:48 offset1:54
	v_add_u32_e32 v9, 0x500, v35
	s_waitcnt lgkmcnt(0)
	s_barrier
	ds_read2_b32 v[27:28], v9 offset0:40 offset1:220
	v_add_u32_e32 v9, 0xb00, v35
	ds_read2_b32 v[25:26], v35 offset1:180
	ds_read2_b32 v[29:30], v9 offset0:16 offset1:196
	s_and_saveexec_b64 s[2:3], s[0:1]
	s_cbranch_execz .LBB0_9
; %bb.8:
	v_add_u32_e32 v9, 0x100, v35
	ds_read2_b32 v[21:22], v9 offset0:44 offset1:224
	v_add_u32_e32 v9, 0x700, v35
	ds_read2_b32 v[23:24], v9 offset0:20 offset1:200
	ds_read2_b32 v[19:20], v8 offset0:60 offset1:240
	s_waitcnt lgkmcnt(2)
	v_lshrrev_b32_e32 v33, 16, v21
	v_lshrrev_b32_e32 v34, 16, v22
	s_waitcnt lgkmcnt(1)
	v_lshrrev_b32_e32 v54, 16, v23
	v_lshrrev_b32_e32 v56, 16, v24
	s_waitcnt lgkmcnt(0)
	v_lshrrev_b32_e32 v31, 16, v19
	v_lshrrev_b32_e32 v32, 16, v20
.LBB0_9:
	s_or_b64 exec, exec, s[2:3]
	v_subrev_u32_e32 v8, 60, v41
	v_cmp_gt_u16_e32 vcc, 60, v41
	v_cndmask_b32_e32 v61, v8, v41, vcc
	v_mul_i32_i24_e32 v9, 20, v61
	v_mul_hi_i32_i24_e32 v8, 20, v61
	v_mov_b32_e32 v10, s5
	v_add_co_u32_e32 v12, vcc, s4, v9
	v_addc_co_u32_e32 v13, vcc, v10, v8, vcc
	s_movk_i32 s2, 0x89
	global_load_dwordx4 v[8:11], v[12:13], off offset:216
	global_load_dword v51, v[12:13], off offset:232
	v_mul_lo_u16_sdwa v12, v55, s2 dst_sel:DWORD dst_unused:UNUSED_PAD src0_sel:BYTE_0 src1_sel:DWORD
	v_lshrrev_b16_e32 v45, 13, v12
	v_mul_lo_u16_e32 v12, 60, v45
	v_sub_u16_e32 v12, v55, v12
	v_and_b32_e32 v46, 0xff, v12
	v_mad_u64_u32 v[57:58], s[2:3], v46, 20, s[4:5]
	global_load_dwordx4 v[12:15], v[57:58], off offset:216
	global_load_dword v52, v[57:58], off offset:232
	s_waitcnt lgkmcnt(1)
	v_lshrrev_b32_e32 v58, 16, v26
	v_lshrrev_b32_e32 v59, 16, v27
	;; [unrolled: 1-line block ×3, first 2 shown]
	s_waitcnt lgkmcnt(0)
	v_lshrrev_b32_e32 v62, 16, v29
	v_lshrrev_b32_e32 v63, 16, v30
	v_lshrrev_b32_e32 v57, 16, v25
	s_movk_i32 s2, 0x3aee
	s_mov_b32 s3, 0xbaee
	v_cmp_lt_u16_e32 vcc, 59, v41
	s_waitcnt vmcnt(0)
	s_barrier
	v_mul_f16_sdwa v64, v58, v8 dst_sel:DWORD dst_unused:UNUSED_PAD src0_sel:DWORD src1_sel:WORD_1
	v_mul_f16_sdwa v66, v59, v9 dst_sel:DWORD dst_unused:UNUSED_PAD src0_sel:DWORD src1_sel:WORD_1
	;; [unrolled: 1-line block ×9, first 2 shown]
	v_fma_f16 v26, v26, v8, -v64
	v_fma_f16 v27, v27, v9, -v66
	v_fma_f16 v59, v59, v9, v67
	v_fma_f16 v28, v28, v10, -v68
	v_fma_f16 v29, v29, v11, -v70
	v_fma_f16 v62, v62, v11, v71
	v_mul_f16_sdwa v73, v30, v51 dst_sel:DWORD dst_unused:UNUSED_PAD src0_sel:DWORD src1_sel:WORD_1
	v_fma_f16 v58, v58, v8, v65
	v_fma_f16 v30, v30, v51, -v72
	v_add_f16_e32 v65, v27, v29
	v_sub_f16_e32 v66, v59, v62
	v_add_f16_e32 v67, v57, v59
	v_add_f16_e32 v59, v59, v62
	v_add_f16_e32 v68, v26, v28
	v_fma_f16 v60, v60, v10, v69
	v_fma_f16 v63, v63, v51, v73
	v_add_f16_e32 v64, v25, v27
	v_add_f16_e32 v69, v28, v30
	v_fma_f16 v25, v65, -0.5, v25
	v_fma_f16 v57, v59, -0.5, v57
	v_add_f16_e32 v59, v68, v30
	v_mul_f16_sdwa v68, v54, v13 dst_sel:DWORD dst_unused:UNUSED_PAD src0_sel:DWORD src1_sel:WORD_1
	v_mul_f16_sdwa v75, v32, v52 dst_sel:DWORD dst_unused:UNUSED_PAD src0_sel:DWORD src1_sel:WORD_1
	v_sub_f16_e32 v27, v27, v29
	v_sub_f16_e32 v70, v60, v63
	v_add_f16_e32 v29, v64, v29
	v_fma_f16 v26, v69, -0.5, v26
	v_fma_f16 v64, v66, s2, v25
	v_fma_f16 v25, v66, s3, v25
	v_mul_f16_sdwa v66, v34, v12 dst_sel:DWORD dst_unused:UNUSED_PAD src0_sel:DWORD src1_sel:WORD_1
	v_mul_f16_sdwa v69, v23, v13 dst_sel:DWORD dst_unused:UNUSED_PAD src0_sel:DWORD src1_sel:WORD_1
	;; [unrolled: 1-line block ×3, first 2 shown]
	v_fma_f16 v23, v23, v13, -v68
	v_fma_f16 v68, v20, v52, -v75
	v_add_f16_e32 v20, v60, v63
	v_add_f16_e32 v62, v67, v62
	v_fma_f16 v65, v27, s3, v57
	v_fma_f16 v27, v27, s2, v57
	;; [unrolled: 1-line block ×4, first 2 shown]
	v_mul_f16_sdwa v67, v22, v12 dst_sel:DWORD dst_unused:UNUSED_PAD src0_sel:DWORD src1_sel:WORD_1
	v_fma_f16 v66, v22, v12, -v66
	v_fma_f16 v20, v20, -0.5, v58
	v_sub_f16_e32 v22, v28, v30
	v_mul_f16_sdwa v70, v56, v14 dst_sel:DWORD dst_unused:UNUSED_PAD src0_sel:DWORD src1_sel:WORD_1
	v_fma_f16 v28, v22, s3, v20
	v_fma_f16 v20, v22, s2, v20
	v_mul_f16_e32 v30, -0.5, v26
	v_mul_f16_sdwa v72, v24, v14 dst_sel:DWORD dst_unused:UNUSED_PAD src0_sel:DWORD src1_sel:WORD_1
	v_mul_f16_sdwa v73, v31, v15 dst_sel:DWORD dst_unused:UNUSED_PAD src0_sel:DWORD src1_sel:WORD_1
	v_fma_f16 v34, v34, v12, v67
	v_fma_f16 v67, v24, v14, -v70
	v_fma_f16 v30, v20, s2, v30
	v_mul_f16_e32 v20, -0.5, v20
	v_add_f16_e32 v71, v58, v60
	v_mul_f16_sdwa v74, v19, v15 dst_sel:DWORD dst_unused:UNUSED_PAD src0_sel:DWORD src1_sel:WORD_1
	v_fma_f16 v56, v56, v14, v72
	v_fma_f16 v24, v19, v15, -v73
	v_fma_f16 v32, v32, v52, v76
	v_mul_f16_e32 v22, 0x3aee, v28
	v_fma_f16 v20, v26, s3, v20
	v_add_f16_e32 v26, v67, v68
	v_fma_f16 v54, v54, v13, v69
	v_fma_f16 v31, v31, v15, v74
	v_add_f16_e32 v19, v71, v63
	v_fma_f16 v22, v57, 0.5, v22
	v_mul_f16_e32 v57, 0xbaee, v57
	v_add_f16_e32 v73, v27, v20
	v_sub_f16_e32 v77, v27, v20
	v_add_f16_e32 v20, v23, v24
	v_fma_f16 v26, v26, -0.5, v66
	v_sub_f16_e32 v27, v56, v32
	v_add_f16_e32 v63, v29, v59
	v_add_f16_e32 v69, v64, v22
	v_add_f16_e32 v70, v25, v30
	v_add_f16_e32 v71, v62, v19
	v_fma_f16 v28, v28, 0.5, v57
	v_sub_f16_e32 v74, v29, v59
	v_sub_f16_e32 v64, v64, v22
	;; [unrolled: 1-line block ×4, first 2 shown]
	v_add_f16_e32 v19, v21, v23
	v_fma_f16 v21, v20, -0.5, v21
	v_sub_f16_e32 v22, v54, v31
	v_fma_f16 v29, v27, s2, v26
	v_fma_f16 v30, v27, s3, v26
	v_add_f16_e32 v27, v56, v32
	v_add_f16_e32 v72, v65, v28
	v_sub_f16_e32 v76, v65, v28
	v_fma_f16 v20, v22, s2, v21
	v_fma_f16 v21, v22, s3, v21
	v_add_f16_e32 v22, v33, v54
	v_fma_f16 v27, v27, -0.5, v34
	v_sub_f16_e32 v28, v67, v68
	v_add_f16_e32 v22, v22, v31
	v_add_f16_e32 v25, v54, v31
	;; [unrolled: 1-line block ×3, first 2 shown]
	v_fma_f16 v31, v28, s3, v27
	v_add_f16_e32 v26, v26, v32
	v_fma_f16 v32, v28, s2, v27
	v_mul_f16_e32 v27, 0x3aee, v31
	v_fma_f16 v27, v29, 0.5, v27
	v_mul_f16_e32 v29, 0xbaee, v29
	v_fma_f16 v29, v31, 0.5, v29
	v_mul_f16_e32 v31, -0.5, v32
	v_mul_f16_e32 v28, -0.5, v30
	v_fma_f16 v30, v30, s3, v31
	v_mov_b32_e32 v31, 0x168
	v_cndmask_b32_e32 v31, 0, v31, vcc
	v_fma_f16 v25, v25, -0.5, v33
	v_sub_f16_e32 v23, v23, v24
	v_add_u32_e32 v31, v61, v31
	v_add_f16_e32 v19, v19, v24
	v_fma_f16 v24, v23, s3, v25
	v_fma_f16 v25, v23, s2, v25
	v_add_f16_e32 v23, v66, v67
	v_fma_f16 v28, v32, s2, v28
	v_lshl_add_u32 v54, v31, 2, v43
	v_pack_b32_f16 v31, v63, v71
	v_pack_b32_f16 v32, v69, v72
	v_add_f16_e32 v23, v23, v68
	ds_write2_b32 v54, v31, v32 offset1:60
	v_pack_b32_f16 v31, v70, v73
	v_pack_b32_f16 v32, v74, v62
	v_sub_f16_e32 v60, v19, v23
	v_sub_f16_e32 v56, v20, v27
	;; [unrolled: 1-line block ×6, first 2 shown]
	ds_write2_b32 v54, v31, v32 offset0:120 offset1:180
	v_pack_b32_f16 v31, v64, v76
	v_pack_b32_f16 v32, v75, v77
	v_add_u32_e32 v33, 0x200, v54
	ds_write2_b32 v33, v31, v32 offset0:112 offset1:172
	s_and_saveexec_b64 s[2:3], s[0:1]
	s_cbranch_execz .LBB0_11
; %bb.10:
	v_add_f16_e32 v19, v19, v23
	v_mul_u32_u24_e32 v23, 0x168, v45
	v_add_f16_e32 v24, v24, v29
	v_add_f16_e32 v22, v22, v26
	;; [unrolled: 1-line block ×3, first 2 shown]
	v_add_u32_e32 v23, v23, v46
	v_add_f16_e32 v25, v25, v30
	v_add_f16_e32 v21, v21, v28
	v_lshl_add_u32 v23, v23, 2, v43
	v_pack_b32_f16 v19, v19, v22
	v_pack_b32_f16 v20, v20, v24
	s_mov_b32 s12, 0x5040100
	ds_write2_b32 v23, v19, v20 offset1:60
	v_pack_b32_f16 v19, v21, v25
	v_perm_b32 v20, v65, v60, s12
	ds_write2_b32 v23, v19, v20 offset0:120 offset1:180
	v_perm_b32 v19, v58, v56, s12
	v_perm_b32 v20, v59, v57, s12
	v_add_u32_e32 v21, 0x200, v23
	ds_write2_b32 v21, v19, v20 offset0:112 offset1:172
.LBB0_11:
	s_or_b64 exec, exec, s[2:3]
	v_add_u32_e32 v19, 0x200, v35
	s_waitcnt lgkmcnt(0)
	s_barrier
	ds_read2_b32 v[27:28], v19 offset0:88 offset1:232
	v_add_u32_e32 v19, 0xa00, v35
	ds_read2_b32 v[33:34], v19 offset0:80 offset1:188
	v_add_u32_e32 v19, 0x600, v35
	ds_read2_b32 v[29:30], v35 offset1:108
	ds_read2_b32 v[31:32], v19 offset0:84 offset1:192
	ds_read_b32 v61, v35 offset:3744
	v_cmp_gt_u16_e64 s[2:3], 36, v41
	s_and_saveexec_b64 s[12:13], s[2:3]
	s_cbranch_execz .LBB0_13
; %bb.12:
	ds_read_b32 v60, v35 offset:1296
	ds_read_b32 v56, v35 offset:2736
	;; [unrolled: 1-line block ×3, first 2 shown]
	s_waitcnt lgkmcnt(2)
	v_lshrrev_b32_e32 v65, 16, v60
	s_waitcnt lgkmcnt(1)
	v_lshrrev_b32_e32 v58, 16, v56
	;; [unrolled: 2-line block ×3, first 2 shown]
.LBB0_13:
	s_or_b64 exec, exec, s[12:13]
	v_lshlrev_b32_e32 v19, 3, v41
	v_lshlrev_b32_e32 v20, 3, v55
	global_load_dwordx2 v[21:22], v19, s[4:5] offset:1416
	global_load_dwordx2 v[23:24], v20, s[4:5] offset:1416
	v_add_u32_e32 v19, 0x6c0, v19
	s_movk_i32 s12, 0x144
	global_load_dwordx2 v[25:26], v19, s[4:5] offset:1416
	s_movk_i32 s16, 0xffdc
	v_add_co_u32_e32 v19, vcc, s12, v41
	v_addc_co_u32_e64 v20, s[12:13], 0, 0, vcc
	v_add_co_u32_e32 v62, vcc, s16, v41
	v_addc_co_u32_e64 v63, s[12:13], 0, -1, vcc
	v_cndmask_b32_e64 v20, v63, v20, s[2:3]
	v_cndmask_b32_e64 v19, v62, v19, s[2:3]
	v_lshlrev_b64 v[19:20], 3, v[19:20]
	v_mov_b32_e32 v55, s5
	v_add_co_u32_e32 v19, vcc, s4, v19
	v_addc_co_u32_e32 v20, vcc, v55, v20, vcc
	global_load_dwordx2 v[19:20], v[19:20], off offset:1416
	s_waitcnt lgkmcnt(4)
	v_lshrrev_b32_e32 v62, 16, v28
	s_waitcnt lgkmcnt(3)
	v_lshrrev_b32_e32 v63, 16, v33
	;; [unrolled: 2-line block ×3, first 2 shown]
	v_lshrrev_b32_e32 v55, 16, v29
	v_lshrrev_b32_e32 v66, 16, v31
	;; [unrolled: 1-line block ×4, first 2 shown]
	s_movk_i32 s4, 0x3aee
	s_mov_b32 s5, 0xbaee
	v_lshrrev_b32_e32 v64, 16, v30
	v_lshrrev_b32_e32 v68, 16, v27
	v_lshl_add_u32 v50, v53, 2, v50
	s_waitcnt vmcnt(3)
	v_mul_f16_sdwa v71, v62, v21 dst_sel:DWORD dst_unused:UNUSED_PAD src0_sel:DWORD src1_sel:WORD_1
	v_mul_f16_sdwa v72, v28, v21 dst_sel:DWORD dst_unused:UNUSED_PAD src0_sel:DWORD src1_sel:WORD_1
	;; [unrolled: 1-line block ×4, first 2 shown]
	v_fma_f16 v28, v28, v21, -v71
	v_fma_f16 v62, v62, v21, v72
	v_fma_f16 v33, v33, v22, -v73
	v_fma_f16 v63, v63, v22, v74
	s_waitcnt vmcnt(1)
	v_mul_f16_sdwa v72, v32, v25 dst_sel:DWORD dst_unused:UNUSED_PAD src0_sel:DWORD src1_sel:WORD_1
	v_mul_f16_sdwa v73, v70, v26 dst_sel:DWORD dst_unused:UNUSED_PAD src0_sel:DWORD src1_sel:WORD_1
	;; [unrolled: 1-line block ×6, first 2 shown]
	v_fma_f16 v69, v69, v25, v72
	v_fma_f16 v61, v61, v26, -v73
	v_fma_f16 v70, v70, v26, v74
	v_add_f16_e32 v72, v28, v33
	v_sub_f16_e32 v73, v62, v63
	v_add_f16_e32 v74, v55, v62
	v_add_f16_e32 v62, v62, v63
	v_mul_f16_sdwa v76, v31, v23 dst_sel:DWORD dst_unused:UNUSED_PAD src0_sel:DWORD src1_sel:WORD_1
	v_mul_f16_sdwa v78, v34, v24 dst_sel:DWORD dst_unused:UNUSED_PAD src0_sel:DWORD src1_sel:WORD_1
	v_fma_f16 v31, v31, v23, -v75
	v_fma_f16 v34, v34, v24, -v77
	;; [unrolled: 1-line block ×3, first 2 shown]
	v_add_f16_e32 v71, v29, v28
	v_sub_f16_e32 v28, v28, v33
	v_fma_f16 v29, v72, -0.5, v29
	v_fma_f16 v55, v62, -0.5, v55
	v_fma_f16 v66, v66, v23, v76
	v_fma_f16 v67, v67, v24, v78
	v_add_f16_e32 v76, v31, v34
	v_add_f16_e32 v33, v71, v33
	;; [unrolled: 1-line block ×3, first 2 shown]
	v_fma_f16 v74, v73, s4, v29
	v_fma_f16 v29, v73, s5, v29
	;; [unrolled: 1-line block ×4, first 2 shown]
	s_waitcnt vmcnt(0)
	v_mul_f16_sdwa v55, v58, v19 dst_sel:DWORD dst_unused:UNUSED_PAD src0_sel:DWORD src1_sel:WORD_1
	v_add_f16_e32 v75, v30, v31
	v_sub_f16_e32 v77, v66, v67
	v_fma_f16 v30, v76, -0.5, v30
	v_fma_f16 v78, v56, v19, -v55
	v_add_f16_e32 v55, v64, v66
	v_add_f16_e32 v72, v75, v34
	v_fma_f16 v75, v77, s4, v30
	v_fma_f16 v30, v77, s5, v30
	v_add_f16_e32 v77, v55, v67
	v_add_f16_e32 v55, v66, v67
	v_mul_f16_sdwa v62, v56, v19 dst_sel:DWORD dst_unused:UNUSED_PAD src0_sel:DWORD src1_sel:WORD_1
	v_mul_f16_sdwa v63, v59, v20 dst_sel:DWORD dst_unused:UNUSED_PAD src0_sel:DWORD src1_sel:WORD_1
	v_fma_f16 v55, v55, -0.5, v64
	v_sub_f16_e32 v31, v31, v34
	v_add_f16_e32 v56, v32, v61
	v_mul_f16_sdwa v76, v57, v20 dst_sel:DWORD dst_unused:UNUSED_PAD src0_sel:DWORD src1_sel:WORD_1
	v_fma_f16 v80, v57, v20, -v63
	v_fma_f16 v34, v31, s5, v55
	v_fma_f16 v31, v31, s4, v55
	v_add_f16_e32 v55, v27, v32
	v_fma_f16 v27, v56, -0.5, v27
	v_sub_f16_e32 v57, v69, v70
	v_fma_f16 v56, v57, s4, v27
	v_fma_f16 v57, v57, s5, v27
	v_add_f16_e32 v27, v68, v69
	v_fma_f16 v76, v59, v20, v76
	v_add_f16_e32 v59, v27, v70
	v_add_f16_e32 v27, v69, v70
	v_fma_f16 v27, v27, -0.5, v68
	v_sub_f16_e32 v32, v32, v61
	v_add_f16_e32 v55, v55, v61
	v_fma_f16 v61, v32, s5, v27
	v_fma_f16 v63, v32, s4, v27
	v_add_f16_e32 v27, v60, v78
	v_fma_f16 v79, v58, v19, v62
	v_add_f16_e32 v58, v27, v80
	v_add_f16_e32 v27, v78, v80
	v_fma_f16 v27, v27, -0.5, v60
	v_sub_f16_e32 v32, v79, v76
	v_fma_f16 v62, v32, s4, v27
	v_fma_f16 v60, v32, s5, v27
	v_add_f16_e32 v27, v65, v79
	v_add_f16_e32 v64, v27, v76
	;; [unrolled: 1-line block ×3, first 2 shown]
	v_fma_f16 v27, v27, -0.5, v65
	v_sub_f16_e32 v32, v78, v80
	v_pack_b32_f16 v28, v29, v28
	v_fma_f16 v65, v32, s5, v27
	v_fma_f16 v66, v32, s4, v27
	v_pack_b32_f16 v27, v33, v71
	v_pack_b32_f16 v32, v74, v73
	ds_write_b32 v35, v28 offset:2880
	v_pack_b32_f16 v28, v72, v77
	ds_write_b32 v35, v32 offset:1440
	ds_write2_b32 v35, v27, v28 offset1:108
	v_pack_b32_f16 v27, v75, v34
	ds_write_b32 v35, v27 offset:1872
	v_pack_b32_f16 v27, v30, v31
	ds_write_b32 v35, v27 offset:3312
	;; [unrolled: 2-line block ×5, first 2 shown]
	s_and_saveexec_b64 s[4:5], s[2:3]
	s_cbranch_execz .LBB0_15
; %bb.14:
	s_mov_b32 s12, 0x5040100
	v_perm_b32 v27, v64, v58, s12
	ds_write_b32 v35, v27 offset:1296
	v_perm_b32 v27, v65, v62, s12
	ds_write_b32 v35, v27 offset:2736
	;; [unrolled: 2-line block ×3, first 2 shown]
.LBB0_15:
	s_or_b64 exec, exec, s[4:5]
	v_mov_b32_e32 v27, s17
	v_addc_co_u32_e64 v32, vcc, 0, v27, s[6:7]
	v_add_co_u32_e32 v27, vcc, 0x10e0, v16
	v_addc_co_u32_e32 v28, vcc, 0, v32, vcc
	v_add_co_u32_e32 v31, vcc, 0x1000, v16
	v_addc_co_u32_e32 v32, vcc, 0, v32, vcc
	s_waitcnt lgkmcnt(0)
	s_barrier
	global_load_dword v31, v[31:32], off offset:224
	ds_read2_b32 v[29:30], v35 offset1:180
	s_waitcnt lgkmcnt(0)
	v_lshrrev_b32_e32 v33, 16, v29
	s_waitcnt vmcnt(0)
	v_mul_f16_sdwa v32, v33, v31 dst_sel:DWORD dst_unused:UNUSED_PAD src0_sel:DWORD src1_sel:WORD_1
	v_fma_f16 v32, v29, v31, -v32
	v_mul_f16_sdwa v29, v29, v31 dst_sel:DWORD dst_unused:UNUSED_PAD src0_sel:DWORD src1_sel:WORD_1
	v_fma_f16 v29, v33, v31, v29
	v_pack_b32_f16 v29, v32, v29
	global_load_dword v32, v[27:28], off offset:720
	v_lshrrev_b32_e32 v31, 16, v30
	s_waitcnt vmcnt(0)
	v_mul_f16_sdwa v33, v31, v32 dst_sel:DWORD dst_unused:UNUSED_PAD src0_sel:DWORD src1_sel:WORD_1
	v_fma_f16 v33, v30, v32, -v33
	v_mul_f16_sdwa v30, v30, v32 dst_sel:DWORD dst_unused:UNUSED_PAD src0_sel:DWORD src1_sel:WORD_1
	v_fma_f16 v30, v31, v32, v30
	v_pack_b32_f16 v30, v33, v30
	global_load_dword v33, v[27:28], off offset:1440
	v_add_u32_e32 v31, 0x500, v35
	ds_write2_b32 v35, v29, v30 offset1:180
	ds_read2_b32 v[29:30], v31 offset0:40 offset1:220
	s_waitcnt lgkmcnt(0)
	v_lshrrev_b32_e32 v32, 16, v29
	s_waitcnt vmcnt(0)
	v_mul_f16_sdwa v34, v32, v33 dst_sel:DWORD dst_unused:UNUSED_PAD src0_sel:DWORD src1_sel:WORD_1
	v_fma_f16 v34, v29, v33, -v34
	v_mul_f16_sdwa v29, v29, v33 dst_sel:DWORD dst_unused:UNUSED_PAD src0_sel:DWORD src1_sel:WORD_1
	v_fma_f16 v29, v32, v33, v29
	global_load_dword v33, v[27:28], off offset:2160
	v_lshrrev_b32_e32 v32, 16, v30
	v_pack_b32_f16 v29, v34, v29
	s_waitcnt vmcnt(0)
	v_mul_f16_sdwa v34, v32, v33 dst_sel:DWORD dst_unused:UNUSED_PAD src0_sel:DWORD src1_sel:WORD_1
	v_fma_f16 v34, v30, v33, -v34
	v_mul_f16_sdwa v30, v30, v33 dst_sel:DWORD dst_unused:UNUSED_PAD src0_sel:DWORD src1_sel:WORD_1
	v_fma_f16 v30, v32, v33, v30
	v_pack_b32_f16 v30, v34, v30
	global_load_dword v34, v[27:28], off offset:2880
	v_add_u32_e32 v33, 0xb00, v35
	ds_write2_b32 v31, v29, v30 offset0:40 offset1:220
	ds_read2_b32 v[29:30], v33 offset0:16 offset1:196
	s_waitcnt lgkmcnt(0)
	v_lshrrev_b32_e32 v32, 16, v29
	s_waitcnt vmcnt(0)
	v_mul_f16_sdwa v53, v32, v34 dst_sel:DWORD dst_unused:UNUSED_PAD src0_sel:DWORD src1_sel:WORD_1
	v_fma_f16 v53, v29, v34, -v53
	v_mul_f16_sdwa v29, v29, v34 dst_sel:DWORD dst_unused:UNUSED_PAD src0_sel:DWORD src1_sel:WORD_1
	v_fma_f16 v29, v32, v34, v29
	global_load_dword v34, v[27:28], off offset:3600
	v_lshrrev_b32_e32 v32, 16, v30
	v_pack_b32_f16 v29, v53, v29
	s_waitcnt vmcnt(0)
	v_mul_f16_sdwa v53, v32, v34 dst_sel:DWORD dst_unused:UNUSED_PAD src0_sel:DWORD src1_sel:WORD_1
	v_fma_f16 v53, v30, v34, -v53
	v_mul_f16_sdwa v30, v30, v34 dst_sel:DWORD dst_unused:UNUSED_PAD src0_sel:DWORD src1_sel:WORD_1
	v_fma_f16 v30, v32, v34, v30
	v_pack_b32_f16 v30, v53, v30
	ds_write2_b32 v33, v29, v30 offset0:16 offset1:196
	s_and_saveexec_b64 s[4:5], s[0:1]
	s_cbranch_execz .LBB0_17
; %bb.16:
	global_load_dword v53, v[27:28], off offset:432
	v_add_u32_e32 v32, 0x100, v35
	ds_read2_b32 v[29:30], v32 offset0:44 offset1:224
	s_waitcnt lgkmcnt(0)
	v_lshrrev_b32_e32 v34, 16, v29
	s_waitcnt vmcnt(0)
	v_mul_f16_sdwa v67, v34, v53 dst_sel:DWORD dst_unused:UNUSED_PAD src0_sel:DWORD src1_sel:WORD_1
	v_fma_f16 v67, v29, v53, -v67
	v_mul_f16_sdwa v29, v29, v53 dst_sel:DWORD dst_unused:UNUSED_PAD src0_sel:DWORD src1_sel:WORD_1
	v_fma_f16 v29, v34, v53, v29
	global_load_dword v53, v[27:28], off offset:1152
	v_lshrrev_b32_e32 v34, 16, v30
	v_pack_b32_f16 v29, v67, v29
	s_waitcnt vmcnt(0)
	v_mul_f16_sdwa v67, v34, v53 dst_sel:DWORD dst_unused:UNUSED_PAD src0_sel:DWORD src1_sel:WORD_1
	v_fma_f16 v67, v30, v53, -v67
	v_mul_f16_sdwa v30, v30, v53 dst_sel:DWORD dst_unused:UNUSED_PAD src0_sel:DWORD src1_sel:WORD_1
	v_fma_f16 v30, v34, v53, v30
	global_load_dword v53, v[27:28], off offset:1872
	v_pack_b32_f16 v30, v67, v30
	ds_write2_b32 v32, v29, v30 offset0:44 offset1:224
	v_add_u32_e32 v32, 0x700, v35
	ds_read2_b32 v[29:30], v32 offset0:20 offset1:200
	s_waitcnt lgkmcnt(0)
	v_lshrrev_b32_e32 v34, 16, v29
	s_waitcnt vmcnt(0)
	v_mul_f16_sdwa v67, v34, v53 dst_sel:DWORD dst_unused:UNUSED_PAD src0_sel:DWORD src1_sel:WORD_1
	v_fma_f16 v67, v29, v53, -v67
	v_mul_f16_sdwa v29, v29, v53 dst_sel:DWORD dst_unused:UNUSED_PAD src0_sel:DWORD src1_sel:WORD_1
	v_fma_f16 v29, v34, v53, v29
	global_load_dword v53, v[27:28], off offset:2592
	v_lshrrev_b32_e32 v34, 16, v30
	v_pack_b32_f16 v29, v67, v29
	s_waitcnt vmcnt(0)
	v_mul_f16_sdwa v67, v34, v53 dst_sel:DWORD dst_unused:UNUSED_PAD src0_sel:DWORD src1_sel:WORD_1
	v_fma_f16 v67, v30, v53, -v67
	v_mul_f16_sdwa v30, v30, v53 dst_sel:DWORD dst_unused:UNUSED_PAD src0_sel:DWORD src1_sel:WORD_1
	v_fma_f16 v30, v34, v53, v30
	global_load_dword v53, v[27:28], off offset:3312
	v_pack_b32_f16 v30, v67, v30
	global_load_dword v27, v[27:28], off offset:4032
	ds_write2_b32 v32, v29, v30 offset0:20 offset1:200
	v_add_u32_e32 v32, 0xc00, v35
	ds_read2_b32 v[29:30], v32 offset0:60 offset1:240
	s_waitcnt lgkmcnt(0)
	v_lshrrev_b32_e32 v34, 16, v29
	s_waitcnt vmcnt(1)
	v_mul_f16_sdwa v67, v34, v53 dst_sel:DWORD dst_unused:UNUSED_PAD src0_sel:DWORD src1_sel:WORD_1
	v_fma_f16 v67, v29, v53, -v67
	v_mul_f16_sdwa v29, v29, v53 dst_sel:DWORD dst_unused:UNUSED_PAD src0_sel:DWORD src1_sel:WORD_1
	v_fma_f16 v29, v34, v53, v29
	v_lshrrev_b32_e32 v34, 16, v30
	s_waitcnt vmcnt(0)
	v_mul_f16_sdwa v28, v34, v27 dst_sel:DWORD dst_unused:UNUSED_PAD src0_sel:DWORD src1_sel:WORD_1
	v_fma_f16 v28, v30, v27, -v28
	v_mul_f16_sdwa v30, v30, v27 dst_sel:DWORD dst_unused:UNUSED_PAD src0_sel:DWORD src1_sel:WORD_1
	v_fma_f16 v27, v34, v27, v30
	v_pack_b32_f16 v29, v67, v29
	v_pack_b32_f16 v27, v28, v27
	ds_write2_b32 v32, v29, v27 offset0:60 offset1:240
.LBB0_17:
	s_or_b64 exec, exec, s[4:5]
	s_waitcnt lgkmcnt(0)
	s_barrier
	ds_read2_b32 v[29:30], v35 offset1:180
	ds_read2_b32 v[31:32], v31 offset0:40 offset1:220
	ds_read2_b32 v[33:34], v33 offset0:16 offset1:196
	s_and_saveexec_b64 s[4:5], s[0:1]
	s_cbranch_execz .LBB0_19
; %bb.18:
	v_lshl_add_u32 v27, v41, 2, v43
	ds_read_b32 v55, v35 offset:432
	ds_read_b32 v57, v35 offset:1872
	;; [unrolled: 1-line block ×6, first 2 shown]
	s_waitcnt lgkmcnt(5)
	v_lshrrev_b32_e32 v59, 16, v55
	s_waitcnt lgkmcnt(3)
	v_lshrrev_b32_e32 v61, 16, v56
	v_lshrrev_b32_e32 v63, 16, v57
	s_waitcnt lgkmcnt(2)
	v_lshrrev_b32_e32 v64, 16, v58
	s_waitcnt lgkmcnt(0)
	v_lshrrev_b32_e32 v65, 16, v62
	v_lshrrev_b32_e32 v66, 16, v60
.LBB0_19:
	s_or_b64 exec, exec, s[4:5]
	v_add_f16_e32 v27, v57, v62
	v_fma_f16 v27, v27, -0.5, v55
	v_sub_f16_e32 v28, v63, v65
	s_mov_b32 s4, 0xbaee
	s_movk_i32 s5, 0x3aee
	v_fma_f16 v68, v28, s4, v27
	v_fma_f16 v69, v28, s5, v27
	v_add_f16_e32 v27, v63, v65
	s_waitcnt lgkmcnt(0)
	v_pk_add_f16 v79, v31, v33
	v_pk_add_f16 v76, v29, v31
	v_fma_f16 v27, v27, -0.5, v59
	v_sub_f16_e32 v28, v57, v62
	v_pk_fma_f16 v29, v79, 0.5, v29 op_sel_hi:[1,0,1] neg_lo:[1,0,0] neg_hi:[1,0,0]
	v_pk_add_f16 v31, v31, v33 neg_lo:[0,1] neg_hi:[0,1]
	v_fma_f16 v70, v28, s5, v27
	v_fma_f16 v71, v28, s4, v27
	v_add_f16_e32 v27, v58, v60
	v_pk_add_f16 v78, v76, v33
	v_pk_fma_f16 v33, v31, s5, v29 op_sel:[0,0,1] op_sel_hi:[1,0,0] neg_lo:[1,0,0] neg_hi:[1,0,0]
	v_pk_fma_f16 v31, v31, s5, v29 op_sel:[0,0,1] op_sel_hi:[1,0,0]
	v_pk_add_f16 v29, v32, v34
	v_pk_add_f16 v77, v30, v32
	v_fma_f16 v27, v27, -0.5, v56
	v_sub_f16_e32 v28, v64, v66
	v_pk_fma_f16 v29, v29, 0.5, v30 op_sel_hi:[1,0,1] neg_lo:[1,0,0] neg_hi:[1,0,0]
	v_pk_add_f16 v30, v32, v34 neg_lo:[0,1] neg_hi:[0,1]
	v_fma_f16 v53, v28, s4, v27
	v_fma_f16 v27, v28, s5, v27
	v_add_f16_e32 v28, v64, v66
	v_pk_fma_f16 v32, v30, s5, v29 op_sel:[0,0,1] op_sel_hi:[1,0,0]
	v_pk_fma_f16 v29, v30, s5, v29 op_sel:[0,0,1] op_sel_hi:[1,0,0] neg_lo:[1,0,0] neg_hi:[1,0,0]
	v_fma_f16 v28, v28, -0.5, v61
	v_sub_f16_e32 v67, v58, v60
	v_pk_add_f16 v77, v77, v34
	v_lshrrev_b32_e32 v30, 16, v29
	v_mul_f16_e32 v34, 0xbaee, v32
	v_fma_f16 v74, v67, s5, v28
	v_fma_f16 v28, v67, s4, v28
	v_fma_f16 v34, v30, 0.5, v34
	v_pk_mul_f16 v30, v29, s5 op_sel_hi:[1,0]
	s_mov_b32 s4, 0xb8003800
	v_pk_fma_f16 v80, v32, s4, v30 op_sel:[0,0,1] op_sel_hi:[1,1,0]
	v_pk_fma_f16 v81, v32, s4, v30 op_sel:[0,0,1] op_sel_hi:[1,1,0] neg_lo:[0,0,1] neg_hi:[0,0,1]
	s_mov_b32 s4, 0xffff
	v_bfi_b32 v30, s4, v80, v81
	v_pk_add_f16 v82, v31, v30
	v_lshrrev_b32_e32 v30, 16, v32
	v_mul_f16_e32 v29, -0.5, v29
	v_fma_f16 v32, v30, s5, v29
	v_mul_f16_e32 v67, 0xbaee, v74
	v_add_f16_sdwa v79, v33, v34 dst_sel:DWORD dst_unused:UNUSED_PAD src0_sel:WORD_1 src1_sel:DWORD
	v_add_f16_e32 v29, v33, v32
	v_fma_f16 v72, v53, 0.5, v67
	v_mul_f16_e32 v67, 0xbaee, v28
	v_pk_add_f16 v76, v78, v77
	v_pk_add_f16 v30, v78, v77 neg_lo:[0,1] neg_hi:[0,1]
	v_alignbit_b32 v29, v29, v82, 16
	v_pack_b32_f16 v77, v79, v82
	v_fma_f16 v73, v27, -0.5, v67
	v_mul_f16_e32 v67, 0.5, v74
	v_mul_f16_e32 v28, -0.5, v28
	s_barrier
	ds_write2_b64 v44, v[76:77], v[29:30] offset1:1
	v_alignbit_b32 v29, v31, v33, 16
	v_pack_b32_f16 v30, v34, v80
	v_fma_f16 v74, v53, s5, v67
	v_fma_f16 v75, v27, s5, v28
	v_pk_add_f16 v29, v29, v30 neg_lo:[0,1] neg_hi:[0,1]
	v_alignbit_b32 v30, v33, v31, 16
	v_alignbit_b32 v31, v32, v81, 16
	v_sub_f16_e32 v27, v68, v72
	v_sub_f16_e32 v28, v69, v73
	;; [unrolled: 1-line block ×4, first 2 shown]
	v_pk_add_f16 v30, v30, v31 neg_lo:[0,1] neg_hi:[0,1]
	ds_write_b64 v44, v[29:30] offset:16
	s_and_saveexec_b64 s[4:5], s[0:1]
	s_cbranch_execz .LBB0_21
; %bb.20:
	v_add_f16_e32 v29, v59, v63
	v_add_f16_e32 v30, v61, v64
	;; [unrolled: 1-line block ×8, first 2 shown]
	v_sub_f16_e32 v31, v29, v30
	v_sub_f16_e32 v34, v32, v33
	v_add_f16_e32 v44, v71, v75
	v_add_f16_e32 v55, v70, v74
	;; [unrolled: 1-line block ×6, first 2 shown]
	v_lshl_add_u32 v33, v47, 2, v43
	v_pack_b32_f16 v30, v34, v31
	v_pack_b32_f16 v31, v32, v29
	;; [unrolled: 1-line block ×4, first 2 shown]
	s_mov_b32 s6, 0x5040100
	ds_write2_b64 v33, v[31:32], v[29:30] offset1:1
	v_perm_b32 v30, v67, v28, s6
	v_perm_b32 v29, v53, v27, s6
	ds_write_b64 v33, v[29:30] offset:16
.LBB0_21:
	s_or_b64 exec, exec, s[4:5]
	s_waitcnt lgkmcnt(0)
	s_barrier
	ds_read2_b32 v[29:30], v35 offset1:108
	v_add_u32_e32 v31, 0x200, v35
	ds_read2_b32 v[32:33], v31 offset0:88 offset1:196
	v_add_u32_e32 v31, 0x600, v35
	ds_read2_b32 v[55:56], v31 offset0:48 offset1:156
	s_waitcnt lgkmcnt(2)
	v_lshrrev_b32_e32 v44, 16, v30
	v_mul_f16_sdwa v69, v0, v44 dst_sel:DWORD dst_unused:UNUSED_PAD src0_sel:WORD_1 src1_sel:DWORD
	s_waitcnt lgkmcnt(1)
	v_lshrrev_b32_e32 v47, 16, v32
	v_add_u32_e32 v31, 0x800, v35
	v_fma_f16 v69, v0, v30, v69
	v_mul_f16_sdwa v30, v0, v30 dst_sel:DWORD dst_unused:UNUSED_PAD src0_sel:WORD_1 src1_sel:DWORD
	ds_read2_b32 v[57:58], v31 offset0:136 offset1:244
	v_fma_f16 v0, v0, v44, -v30
	v_mul_f16_sdwa v30, v1, v47 dst_sel:DWORD dst_unused:UNUSED_PAD src0_sel:WORD_1 src1_sel:DWORD
	v_lshrrev_b32_e32 v61, 16, v33
	v_add_u32_e32 v31, 0xc00, v35
	v_fma_f16 v30, v1, v32, v30
	v_mul_f16_sdwa v32, v1, v32 dst_sel:DWORD dst_unused:UNUSED_PAD src0_sel:WORD_1 src1_sel:DWORD
	ds_read2_b32 v[59:60], v31 offset0:96 offset1:204
	v_fma_f16 v1, v1, v47, -v32
	v_mul_f16_sdwa v32, v2, v61 dst_sel:DWORD dst_unused:UNUSED_PAD src0_sel:WORD_1 src1_sel:DWORD
	s_waitcnt lgkmcnt(2)
	v_lshrrev_b32_e32 v62, 16, v55
	v_fma_f16 v32, v2, v33, v32
	v_mul_f16_sdwa v33, v2, v33 dst_sel:DWORD dst_unused:UNUSED_PAD src0_sel:WORD_1 src1_sel:DWORD
	v_lshrrev_b32_e32 v63, 16, v56
	v_fma_f16 v2, v2, v61, -v33
	v_mul_f16_sdwa v33, v3, v62 dst_sel:DWORD dst_unused:UNUSED_PAD src0_sel:WORD_1 src1_sel:DWORD
	v_mul_f16_sdwa v44, v3, v55 dst_sel:DWORD dst_unused:UNUSED_PAD src0_sel:WORD_1 src1_sel:DWORD
	s_waitcnt lgkmcnt(1)
	v_lshrrev_b32_e32 v64, 16, v57
	v_fma_f16 v33, v3, v55, v33
	v_fma_f16 v3, v3, v62, -v44
	v_mul_f16_sdwa v44, v4, v63 dst_sel:DWORD dst_unused:UNUSED_PAD src0_sel:WORD_1 src1_sel:DWORD
	v_mul_f16_sdwa v47, v4, v56 dst_sel:DWORD dst_unused:UNUSED_PAD src0_sel:WORD_1 src1_sel:DWORD
	v_lshrrev_b32_e32 v65, 16, v58
	v_fma_f16 v44, v4, v56, v44
	v_fma_f16 v4, v4, v63, -v47
	v_mul_f16_sdwa v47, v5, v64 dst_sel:DWORD dst_unused:UNUSED_PAD src0_sel:WORD_1 src1_sel:DWORD
	v_mul_f16_sdwa v55, v5, v57 dst_sel:DWORD dst_unused:UNUSED_PAD src0_sel:WORD_1 src1_sel:DWORD
	s_waitcnt lgkmcnt(0)
	v_lshrrev_b32_e32 v66, 16, v59
	v_fma_f16 v47, v5, v57, v47
	v_fma_f16 v5, v5, v64, -v55
	v_mul_f16_sdwa v55, v6, v65 dst_sel:DWORD dst_unused:UNUSED_PAD src0_sel:WORD_1 src1_sel:DWORD
	v_mul_f16_sdwa v56, v6, v58 dst_sel:DWORD dst_unused:UNUSED_PAD src0_sel:WORD_1 src1_sel:DWORD
	v_lshrrev_b32_e32 v68, 16, v60
	v_fma_f16 v55, v6, v58, v55
	v_fma_f16 v6, v6, v65, -v56
	v_mul_f16_sdwa v56, v7, v66 dst_sel:DWORD dst_unused:UNUSED_PAD src0_sel:WORD_1 src1_sel:DWORD
	v_mul_f16_sdwa v57, v7, v59 dst_sel:DWORD dst_unused:UNUSED_PAD src0_sel:WORD_1 src1_sel:DWORD
	v_fma_f16 v56, v7, v59, v56
	v_fma_f16 v7, v7, v66, -v57
	v_mul_f16_sdwa v57, v48, v68 dst_sel:DWORD dst_unused:UNUSED_PAD src0_sel:WORD_1 src1_sel:DWORD
	v_add_f16_e32 v59, v33, v47
	v_fma_f16 v57, v48, v60, v57
	v_mul_f16_sdwa v58, v48, v60 dst_sel:DWORD dst_unused:UNUSED_PAD src0_sel:WORD_1 src1_sel:DWORD
	v_fma_f16 v59, v59, -0.5, v29
	v_sub_f16_e32 v60, v1, v7
	s_mov_b32 s4, 0xbb9c
	s_movk_i32 s7, 0x3b9c
	v_fma_f16 v61, v60, s4, v59
	v_sub_f16_e32 v62, v3, v5
	s_mov_b32 s5, 0xb8b4
	v_sub_f16_e32 v63, v30, v33
	v_sub_f16_e32 v64, v56, v47
	v_fma_f16 v59, v60, s7, v59
	s_movk_i32 s12, 0x38b4
	v_fma_f16 v61, v62, s5, v61
	v_add_f16_e32 v63, v63, v64
	s_movk_i32 s6, 0x34f2
	v_fma_f16 v59, v62, s12, v59
	v_fma_f16 v61, v63, s6, v61
	;; [unrolled: 1-line block ×3, first 2 shown]
	v_add_f16_e32 v63, v30, v56
	v_lshrrev_b32_e32 v34, 16, v29
	v_fma_f16 v48, v48, v68, -v58
	v_add_f16_e32 v58, v29, v30
	v_fma_f16 v29, v63, -0.5, v29
	v_add_f16_e32 v58, v58, v33
	v_fma_f16 v63, v62, s7, v29
	v_fma_f16 v29, v62, s4, v29
	v_add_f16_e32 v62, v3, v5
	v_add_f16_e32 v58, v58, v47
	v_sub_f16_e32 v64, v33, v30
	v_sub_f16_e32 v65, v47, v56
	v_fma_f16 v62, v62, -0.5, v34
	v_sub_f16_e32 v30, v30, v56
	v_add_f16_e32 v58, v58, v56
	v_fma_f16 v63, v60, s5, v63
	v_add_f16_e32 v64, v64, v65
	v_fma_f16 v29, v60, s12, v29
	v_fma_f16 v56, v30, s7, v62
	v_sub_f16_e32 v33, v33, v47
	v_fma_f16 v63, v64, s6, v63
	v_fma_f16 v29, v64, s6, v29
	;; [unrolled: 1-line block ×3, first 2 shown]
	v_sub_f16_e32 v56, v1, v3
	v_sub_f16_e32 v64, v7, v5
	v_fma_f16 v62, v30, s4, v62
	v_add_f16_e32 v56, v56, v64
	v_fma_f16 v62, v33, s5, v62
	v_add_f16_e32 v60, v34, v1
	v_fma_f16 v47, v56, s6, v47
	v_fma_f16 v56, v56, s6, v62
	v_add_f16_e32 v62, v1, v7
	v_add_f16_e32 v60, v60, v3
	v_fma_f16 v34, v62, -0.5, v34
	v_sub_f16_e32 v1, v3, v1
	v_sub_f16_e32 v3, v5, v7
	v_add_f16_e32 v1, v1, v3
	v_fma_f16 v3, v33, s7, v34
	v_add_f16_e32 v60, v60, v5
	v_fma_f16 v3, v30, s5, v3
	;; [unrolled: 2-line block ×3, first 2 shown]
	v_fma_f16 v7, v1, s6, v3
	v_add_f16_e32 v3, v44, v55
	v_fma_f16 v62, v30, s12, v62
	v_fma_f16 v3, v3, -0.5, v69
	v_sub_f16_e32 v30, v2, v48
	v_fma_f16 v5, v1, s6, v62
	v_fma_f16 v33, v30, s4, v3
	v_sub_f16_e32 v34, v4, v6
	v_sub_f16_e32 v62, v32, v44
	;; [unrolled: 1-line block ×3, first 2 shown]
	v_fma_f16 v3, v30, s7, v3
	v_fma_f16 v33, v34, s5, v33
	v_add_f16_e32 v62, v62, v64
	v_fma_f16 v3, v34, s12, v3
	v_fma_f16 v33, v62, s6, v33
	;; [unrolled: 1-line block ×3, first 2 shown]
	v_add_f16_e32 v62, v32, v57
	v_add_f16_e32 v1, v69, v32
	v_fma_f16 v62, v62, -0.5, v69
	v_add_f16_e32 v1, v1, v44
	v_fma_f16 v64, v34, s7, v62
	v_fma_f16 v34, v34, s4, v62
	v_add_f16_e32 v62, v4, v6
	v_add_f16_e32 v1, v1, v55
	v_sub_f16_e32 v65, v44, v32
	v_sub_f16_e32 v66, v55, v57
	v_fma_f16 v62, v62, -0.5, v0
	v_sub_f16_e32 v32, v32, v57
	v_add_f16_e32 v1, v1, v57
	v_fma_f16 v64, v30, s5, v64
	v_add_f16_e32 v65, v65, v66
	v_fma_f16 v30, v30, s12, v34
	v_fma_f16 v57, v32, s7, v62
	v_sub_f16_e32 v44, v44, v55
	v_fma_f16 v64, v65, s6, v64
	v_fma_f16 v30, v65, s6, v30
	;; [unrolled: 1-line block ×3, first 2 shown]
	v_sub_f16_e32 v57, v2, v4
	v_sub_f16_e32 v65, v48, v6
	v_fma_f16 v62, v32, s4, v62
	v_add_f16_e32 v57, v57, v65
	v_fma_f16 v62, v44, s5, v62
	v_fma_f16 v55, v57, s6, v55
	;; [unrolled: 1-line block ×3, first 2 shown]
	v_add_f16_e32 v62, v2, v48
	v_add_f16_e32 v34, v0, v2
	v_fma_f16 v0, v62, -0.5, v0
	v_add_f16_e32 v34, v34, v4
	v_fma_f16 v62, v44, s4, v0
	v_sub_f16_e32 v2, v4, v2
	v_sub_f16_e32 v4, v6, v48
	v_fma_f16 v0, v44, s7, v0
	v_fma_f16 v62, v32, s12, v62
	v_add_f16_e32 v2, v2, v4
	v_fma_f16 v0, v32, s5, v0
	v_add_f16_e32 v34, v34, v6
	v_fma_f16 v4, v2, s6, v62
	v_fma_f16 v0, v2, s6, v0
	v_mul_f16_e32 v2, 0xb8b4, v55
	s_movk_i32 s4, 0x3a79
	v_mul_f16_e32 v55, 0x3a79, v55
	v_add_f16_e32 v34, v34, v48
	v_fma_f16 v2, v33, s4, v2
	v_mul_f16_e32 v32, 0xbb9c, v4
	v_mul_f16_e32 v44, 0xbb9c, v0
	s_mov_b32 s4, 0xb4f2
	v_fma_f16 v33, v33, s12, v55
	v_mul_f16_e32 v4, 0x34f2, v4
	v_mul_f16_e32 v0, 0xb4f2, v0
	v_add_f16_e32 v6, v58, v1
	v_add_f16_e32 v48, v61, v2
	v_fma_f16 v32, v64, s6, v32
	v_fma_f16 v44, v30, s4, v44
	v_mul_f16_e32 v66, 0xb8b4, v57
	s_mov_b32 s4, 0xba79
	v_add_f16_e32 v69, v60, v34
	v_add_f16_e32 v55, v47, v33
	v_fma_f16 v4, v64, s7, v4
	v_fma_f16 v30, v30, s7, v0
	v_mul_f16_e32 v0, 0xba79, v57
	v_add_f16_e32 v62, v63, v32
	v_add_f16_e32 v65, v29, v44
	v_fma_f16 v66, v3, s4, v66
	v_add_f16_e32 v64, v5, v4
	v_add_f16_e32 v70, v7, v30
	v_fma_f16 v57, v3, s12, v0
	v_sub_f16_e32 v0, v61, v2
	v_sub_f16_e32 v2, v29, v44
	;; [unrolled: 1-line block ×3, first 2 shown]
	v_pack_b32_f16 v4, v6, v69
	v_pack_b32_f16 v5, v48, v55
	v_add_f16_e32 v68, v59, v66
	v_add_f16_e32 v71, v56, v57
	v_sub_f16_e32 v58, v58, v1
	v_sub_f16_e32 v29, v60, v34
	s_barrier
	ds_write2_b32 v49, v4, v5 offset1:6
	v_pack_b32_f16 v4, v62, v64
	v_pack_b32_f16 v5, v65, v70
	v_sub_f16_e32 v1, v63, v32
	v_sub_f16_e32 v32, v47, v33
	ds_write2_b32 v49, v4, v5 offset0:12 offset1:18
	v_pack_b32_f16 v4, v68, v71
	v_pack_b32_f16 v5, v58, v29
	v_sub_f16_e32 v3, v59, v66
	v_sub_f16_e32 v34, v7, v30
	;; [unrolled: 1-line block ×3, first 2 shown]
	ds_write2_b32 v49, v4, v5 offset0:24 offset1:30
	v_pack_b32_f16 v4, v0, v32
	v_pack_b32_f16 v5, v1, v44
	ds_write2_b32 v49, v4, v5 offset0:36 offset1:42
	v_pack_b32_f16 v4, v2, v34
	v_pack_b32_f16 v5, v3, v33
	v_add_u32_e32 v6, 0x500, v35
	ds_write2_b32 v49, v4, v5 offset0:48 offset1:54
	s_waitcnt lgkmcnt(0)
	s_barrier
	ds_read2_b32 v[29:30], v6 offset0:40 offset1:220
	v_add_u32_e32 v6, 0xb00, v35
	ds_read2_b32 v[4:5], v35 offset1:180
	ds_read2_b32 v[6:7], v6 offset0:16 offset1:196
	s_and_saveexec_b64 s[4:5], s[0:1]
	s_cbranch_execz .LBB0_23
; %bb.22:
	v_add_u32_e32 v0, 0x100, v35
	v_add_u32_e32 v2, 0x700, v35
	ds_read2_b32 v[0:1], v0 offset0:44 offset1:224
	ds_read2_b32 v[2:3], v2 offset0:20 offset1:200
	;; [unrolled: 1-line block ×3, first 2 shown]
	s_waitcnt lgkmcnt(1)
	v_lshrrev_b32_e32 v34, 16, v2
	v_lshrrev_b32_e32 v32, 16, v0
	;; [unrolled: 1-line block ×4, first 2 shown]
	s_waitcnt lgkmcnt(0)
	v_lshrrev_b32_e32 v53, 16, v27
	v_lshrrev_b32_e32 v67, 16, v28
.LBB0_23:
	s_or_b64 exec, exec, s[4:5]
	s_waitcnt lgkmcnt(1)
	v_lshrrev_b32_e32 v47, 16, v5
	v_mul_f16_sdwa v57, v8, v47 dst_sel:DWORD dst_unused:UNUSED_PAD src0_sel:WORD_1 src1_sel:DWORD
	v_fma_f16 v57, v8, v5, v57
	v_mul_f16_sdwa v5, v8, v5 dst_sel:DWORD dst_unused:UNUSED_PAD src0_sel:WORD_1 src1_sel:DWORD
	v_fma_f16 v5, v8, v47, -v5
	v_mul_f16_sdwa v47, v12, v44 dst_sel:DWORD dst_unused:UNUSED_PAD src0_sel:WORD_1 src1_sel:DWORD
	v_lshrrev_b32_e32 v48, 16, v29
	v_fma_f16 v47, v12, v1, v47
	v_mul_f16_sdwa v1, v12, v1 dst_sel:DWORD dst_unused:UNUSED_PAD src0_sel:WORD_1 src1_sel:DWORD
	v_mul_f16_sdwa v8, v9, v48 dst_sel:DWORD dst_unused:UNUSED_PAD src0_sel:WORD_1 src1_sel:DWORD
	v_fma_f16 v12, v12, v44, -v1
	v_mul_f16_sdwa v1, v13, v34 dst_sel:DWORD dst_unused:UNUSED_PAD src0_sel:WORD_1 src1_sel:DWORD
	v_lshrrev_b32_e32 v49, 16, v30
	v_fma_f16 v8, v9, v29, v8
	v_mul_f16_sdwa v29, v9, v29 dst_sel:DWORD dst_unused:UNUSED_PAD src0_sel:WORD_1 src1_sel:DWORD
	v_fma_f16 v44, v13, v2, v1
	v_mul_f16_sdwa v1, v13, v2 dst_sel:DWORD dst_unused:UNUSED_PAD src0_sel:WORD_1 src1_sel:DWORD
	v_fma_f16 v9, v9, v48, -v29
	v_mul_f16_sdwa v29, v10, v49 dst_sel:DWORD dst_unused:UNUSED_PAD src0_sel:WORD_1 src1_sel:DWORD
	v_fma_f16 v13, v13, v34, -v1
	v_mul_f16_sdwa v1, v14, v33 dst_sel:DWORD dst_unused:UNUSED_PAD src0_sel:WORD_1 src1_sel:DWORD
	s_waitcnt lgkmcnt(0)
	v_lshrrev_b32_e32 v55, 16, v6
	v_fma_f16 v29, v10, v30, v29
	v_mul_f16_sdwa v30, v10, v30 dst_sel:DWORD dst_unused:UNUSED_PAD src0_sel:WORD_1 src1_sel:DWORD
	v_fma_f16 v34, v14, v3, v1
	v_mul_f16_sdwa v1, v14, v3 dst_sel:DWORD dst_unused:UNUSED_PAD src0_sel:WORD_1 src1_sel:DWORD
	v_fma_f16 v10, v10, v49, -v30
	v_mul_f16_sdwa v30, v11, v55 dst_sel:DWORD dst_unused:UNUSED_PAD src0_sel:WORD_1 src1_sel:DWORD
	v_fma_f16 v14, v14, v33, -v1
	v_mul_f16_sdwa v1, v15, v53 dst_sel:DWORD dst_unused:UNUSED_PAD src0_sel:WORD_1 src1_sel:DWORD
	v_fma_f16 v30, v11, v6, v30
	v_mul_f16_sdwa v6, v11, v6 dst_sel:DWORD dst_unused:UNUSED_PAD src0_sel:WORD_1 src1_sel:DWORD
	v_fma_f16 v33, v15, v27, v1
	v_mul_f16_sdwa v1, v15, v27 dst_sel:DWORD dst_unused:UNUSED_PAD src0_sel:WORD_1 src1_sel:DWORD
	v_lshrrev_b32_e32 v56, 16, v7
	v_fma_f16 v6, v11, v55, -v6
	v_fma_f16 v15, v15, v53, -v1
	v_mul_f16_sdwa v1, v52, v67 dst_sel:DWORD dst_unused:UNUSED_PAD src0_sel:WORD_1 src1_sel:DWORD
	v_add_f16_e32 v2, v8, v30
	v_lshrrev_b32_e32 v31, 16, v4
	v_mul_f16_sdwa v11, v51, v56 dst_sel:DWORD dst_unused:UNUSED_PAD src0_sel:WORD_1 src1_sel:DWORD
	v_fma_f16 v27, v52, v28, v1
	v_mul_f16_sdwa v1, v52, v28 dst_sel:DWORD dst_unused:UNUSED_PAD src0_sel:WORD_1 src1_sel:DWORD
	v_fma_f16 v2, v2, -0.5, v4
	v_sub_f16_e32 v3, v9, v6
	s_mov_b32 s4, 0xbaee
	s_movk_i32 s5, 0x3aee
	v_fma_f16 v11, v51, v7, v11
	v_mul_f16_sdwa v7, v51, v7 dst_sel:DWORD dst_unused:UNUSED_PAD src0_sel:WORD_1 src1_sel:DWORD
	v_fma_f16 v28, v52, v67, -v1
	v_add_f16_e32 v1, v4, v8
	v_fma_f16 v4, v3, s4, v2
	v_fma_f16 v2, v3, s5, v2
	v_add_f16_e32 v3, v31, v9
	v_fma_f16 v7, v51, v56, -v7
	v_add_f16_e32 v1, v1, v30
	v_add_f16_e32 v3, v3, v6
	;; [unrolled: 1-line block ×3, first 2 shown]
	v_sub_f16_e32 v8, v8, v30
	v_add_f16_e32 v30, v29, v11
	v_fma_f16 v6, v6, -0.5, v31
	v_fma_f16 v30, v30, -0.5, v57
	v_sub_f16_e32 v31, v10, v7
	v_fma_f16 v48, v31, s4, v30
	v_fma_f16 v30, v31, s5, v30
	v_add_f16_e32 v31, v5, v10
	v_add_f16_e32 v31, v31, v7
	;; [unrolled: 1-line block ×3, first 2 shown]
	v_fma_f16 v5, v7, -0.5, v5
	v_sub_f16_e32 v7, v29, v11
	v_fma_f16 v10, v7, s5, v5
	v_fma_f16 v9, v8, s5, v6
	;; [unrolled: 1-line block ×3, first 2 shown]
	v_add_f16_e32 v8, v57, v29
	v_fma_f16 v5, v7, s4, v5
	v_mul_f16_e32 v7, 0xbaee, v10
	v_mul_f16_e32 v10, 0.5, v10
	v_add_f16_e32 v8, v8, v11
	v_fma_f16 v7, v48, 0.5, v7
	v_mul_f16_e32 v11, 0xbaee, v5
	v_fma_f16 v10, v48, s5, v10
	v_add_f16_e32 v49, v4, v7
	v_fma_f16 v11, v30, -0.5, v11
	v_add_f16_e32 v48, v9, v10
	v_sub_f16_e32 v55, v4, v7
	v_sub_f16_e32 v57, v9, v10
	v_add_f16_e32 v7, v34, v27
	v_add_f16_e32 v10, v14, v28
	;; [unrolled: 1-line block ×4, first 2 shown]
	v_sub_f16_e32 v53, v1, v8
	v_sub_f16_e32 v56, v2, v11
	v_fma_f16 v7, v7, -0.5, v47
	v_sub_f16_e32 v8, v14, v28
	v_fma_f16 v10, v10, -0.5, v12
	v_sub_f16_e32 v11, v34, v27
	v_mul_f16_e32 v5, -0.5, v5
	v_add_f16_e32 v2, v44, v33
	v_fma_f16 v9, v8, s4, v7
	v_fma_f16 v8, v8, s5, v7
	v_add_f16_e32 v7, v12, v14
	v_fma_f16 v12, v11, s5, v10
	v_add_f16_e32 v52, v3, v31
	v_fma_f16 v5, v30, s5, v5
	v_sub_f16_e32 v31, v3, v31
	v_fma_f16 v2, v2, -0.5, v0
	v_sub_f16_e32 v3, v13, v15
	v_add_f16_e32 v4, v13, v15
	v_fma_f16 v10, v11, s4, v10
	v_mul_f16_e32 v11, 0xbaee, v12
	v_add_f16_e32 v30, v6, v5
	v_sub_f16_e32 v58, v6, v5
	v_add_f16_e32 v1, v0, v44
	v_fma_f16 v0, v3, s4, v2
	v_fma_f16 v2, v3, s5, v2
	v_add_f16_e32 v3, v32, v13
	v_fma_f16 v4, v4, -0.5, v32
	v_sub_f16_e32 v6, v44, v33
	v_fma_f16 v14, v9, 0.5, v11
	v_mul_f16_e32 v11, 0xbaee, v10
	v_add_f16_e32 v3, v3, v15
	v_fma_f16 v5, v6, s5, v4
	v_fma_f16 v6, v6, s4, v4
	v_add_f16_e32 v4, v47, v34
	v_fma_f16 v15, v8, -0.5, v11
	v_mul_f16_e32 v11, 0.5, v12
	v_add_f16_e32 v4, v4, v27
	v_fma_f16 v27, v9, s5, v11
	v_mul_f16_e32 v9, -0.5, v10
	v_pack_b32_f16 v29, v29, v52
	v_pack_b32_f16 v32, v49, v48
	v_add_f16_e32 v1, v1, v33
	v_add_f16_e32 v7, v7, v28
	v_fma_f16 v28, v8, s5, v9
	s_barrier
	ds_write2_b32 v54, v29, v32 offset1:60
	v_pack_b32_f16 v29, v51, v30
	v_pack_b32_f16 v30, v53, v31
	v_sub_f16_e32 v8, v1, v4
	v_sub_f16_e32 v9, v0, v14
	;; [unrolled: 1-line block ×6, first 2 shown]
	ds_write2_b32 v54, v29, v30 offset0:120 offset1:180
	v_pack_b32_f16 v29, v55, v57
	v_pack_b32_f16 v30, v56, v58
	v_add_u32_e32 v31, 0x200, v54
	ds_write2_b32 v31, v29, v30 offset0:112 offset1:172
	s_and_saveexec_b64 s[4:5], s[0:1]
	s_cbranch_execz .LBB0_25
; %bb.24:
	v_add_f16_e32 v1, v1, v4
	v_mul_u32_u24_e32 v4, 0x168, v45
	v_add_f16_e32 v5, v5, v27
	v_add_f16_e32 v3, v3, v7
	;; [unrolled: 1-line block ×3, first 2 shown]
	v_add_u32_e32 v4, v4, v46
	v_add_f16_e32 v6, v6, v28
	v_add_f16_e32 v2, v2, v15
	v_lshl_add_u32 v4, v4, 2, v43
	v_pack_b32_f16 v1, v1, v3
	v_pack_b32_f16 v0, v0, v5
	s_mov_b32 s6, 0x5040100
	ds_write2_b32 v4, v1, v0 offset1:60
	v_pack_b32_f16 v0, v2, v6
	v_perm_b32 v1, v10, v8, s6
	ds_write2_b32 v4, v0, v1 offset0:120 offset1:180
	v_perm_b32 v0, v12, v9, s6
	v_perm_b32 v1, v13, v11, s6
	v_add_u32_e32 v2, 0x200, v4
	ds_write2_b32 v2, v0, v1 offset0:112 offset1:172
.LBB0_25:
	s_or_b64 exec, exec, s[4:5]
	v_add_u32_e32 v4, 0xa00, v35
	s_waitcnt lgkmcnt(0)
	s_barrier
	v_add_u32_e32 v14, 0x200, v35
	ds_read2_b32 v[6:7], v4 offset0:80 offset1:188
	v_add_u32_e32 v4, 0x600, v35
	ds_read2_b32 v[2:3], v35 offset1:108
	ds_read2_b32 v[0:1], v14 offset0:88 offset1:232
	ds_read2_b32 v[4:5], v4 offset0:84 offset1:192
	ds_read_b32 v27, v35 offset:3744
	v_add_u32_e32 v15, 0x360, v50
	s_and_saveexec_b64 s[4:5], s[2:3]
	s_cbranch_execz .LBB0_27
; %bb.26:
	ds_read_b32 v8, v35 offset:1296
	ds_read_b32 v9, v35 offset:2736
	;; [unrolled: 1-line block ×3, first 2 shown]
	s_waitcnt lgkmcnt(2)
	v_lshrrev_b32_e32 v10, 16, v8
	s_waitcnt lgkmcnt(1)
	v_lshrrev_b32_e32 v12, 16, v9
	;; [unrolled: 2-line block ×3, first 2 shown]
.LBB0_27:
	s_or_b64 exec, exec, s[4:5]
	s_waitcnt lgkmcnt(2)
	v_lshrrev_b32_e32 v29, 16, v1
	v_mul_f16_sdwa v45, v21, v29 dst_sel:DWORD dst_unused:UNUSED_PAD src0_sel:WORD_1 src1_sel:DWORD
	v_lshrrev_b32_e32 v30, 16, v6
	v_fma_f16 v45, v21, v1, v45
	v_mul_f16_sdwa v1, v21, v1 dst_sel:DWORD dst_unused:UNUSED_PAD src0_sel:WORD_1 src1_sel:DWORD
	v_fma_f16 v1, v21, v29, -v1
	v_mul_f16_sdwa v21, v22, v30 dst_sel:DWORD dst_unused:UNUSED_PAD src0_sel:WORD_1 src1_sel:DWORD
	s_waitcnt lgkmcnt(1)
	v_lshrrev_b32_e32 v32, 16, v4
	v_fma_f16 v21, v22, v6, v21
	v_mul_f16_sdwa v6, v22, v6 dst_sel:DWORD dst_unused:UNUSED_PAD src0_sel:WORD_1 src1_sel:DWORD
	v_fma_f16 v6, v22, v30, -v6
	v_mul_f16_sdwa v22, v23, v32 dst_sel:DWORD dst_unused:UNUSED_PAD src0_sel:WORD_1 src1_sel:DWORD
	v_lshrrev_b32_e32 v33, 16, v7
	v_fma_f16 v22, v23, v4, v22
	v_mul_f16_sdwa v4, v23, v4 dst_sel:DWORD dst_unused:UNUSED_PAD src0_sel:WORD_1 src1_sel:DWORD
	v_fma_f16 v4, v23, v32, -v4
	v_mul_f16_sdwa v23, v24, v33 dst_sel:DWORD dst_unused:UNUSED_PAD src0_sel:WORD_1 src1_sel:DWORD
	;; [unrolled: 5-line block ×3, first 2 shown]
	s_waitcnt lgkmcnt(0)
	v_lshrrev_b32_e32 v44, 16, v27
	v_fma_f16 v24, v25, v5, v24
	v_mul_f16_sdwa v5, v25, v5 dst_sel:DWORD dst_unused:UNUSED_PAD src0_sel:WORD_1 src1_sel:DWORD
	v_fma_f16 v5, v25, v43, -v5
	v_mul_f16_sdwa v25, v26, v44 dst_sel:DWORD dst_unused:UNUSED_PAD src0_sel:WORD_1 src1_sel:DWORD
	v_fma_f16 v25, v26, v27, v25
	v_mul_f16_sdwa v27, v26, v27 dst_sel:DWORD dst_unused:UNUSED_PAD src0_sel:WORD_1 src1_sel:DWORD
	v_add_f16_e32 v29, v45, v21
	v_lshrrev_b32_e32 v28, 16, v2
	v_fma_f16 v26, v26, v44, -v27
	v_add_f16_e32 v27, v2, v45
	v_fma_f16 v2, v29, -0.5, v2
	v_sub_f16_e32 v29, v1, v6
	s_mov_b32 s6, 0xbaee
	s_movk_i32 s7, 0x3aee
	v_fma_f16 v30, v29, s6, v2
	v_fma_f16 v2, v29, s7, v2
	v_add_f16_e32 v29, v28, v1
	v_add_f16_e32 v1, v1, v6
	;; [unrolled: 1-line block ×3, first 2 shown]
	v_fma_f16 v1, v1, -0.5, v28
	v_sub_f16_e32 v6, v45, v21
	v_add_f16_e32 v28, v22, v23
	v_lshrrev_b32_e32 v31, 16, v3
	v_add_f16_e32 v27, v27, v21
	v_fma_f16 v21, v6, s7, v1
	v_fma_f16 v1, v6, s6, v1
	v_add_f16_e32 v6, v3, v22
	v_fma_f16 v3, v28, -0.5, v3
	v_sub_f16_e32 v28, v4, v7
	v_fma_f16 v32, v28, s6, v3
	v_fma_f16 v3, v28, s7, v3
	v_add_f16_e32 v28, v31, v4
	v_add_f16_e32 v4, v4, v7
	;; [unrolled: 1-line block ×4, first 2 shown]
	v_fma_f16 v4, v4, -0.5, v31
	v_sub_f16_e32 v7, v22, v23
	v_add_f16_e32 v23, v24, v25
	v_lshrrev_b32_e32 v34, 16, v0
	v_fma_f16 v22, v7, s7, v4
	v_fma_f16 v4, v7, s6, v4
	v_add_f16_e32 v7, v0, v24
	v_fma_f16 v0, v23, -0.5, v0
	v_sub_f16_e32 v23, v5, v26
	v_fma_f16 v31, v23, s6, v0
	v_fma_f16 v0, v23, s7, v0
	v_add_f16_e32 v23, v34, v5
	v_add_f16_e32 v5, v5, v26
	v_fma_f16 v5, v5, -0.5, v34
	v_sub_f16_e32 v24, v24, v25
	v_add_f16_e32 v7, v7, v25
	v_fma_f16 v25, v24, s7, v5
	v_fma_f16 v5, v24, s6, v5
	v_pack_b32_f16 v24, v27, v29
	v_pack_b32_f16 v1, v2, v1
	;; [unrolled: 1-line block ×3, first 2 shown]
	ds_write2_b32 v35, v24, v2 offset1:108
	v_pack_b32_f16 v2, v32, v22
	v_add_u32_e32 v6, 0x750, v35
	v_add_f16_e32 v23, v23, v26
	ds_write2_b32 v6, v2, v1 offset1:252
	v_pack_b32_f16 v1, v3, v4
	v_pack_b32_f16 v21, v30, v21
	ds_write_b32 v35, v1 offset:3312
	v_pack_b32_f16 v1, v7, v23
	ds_write2_b32 v14, v1, v21 offset0:88 offset1:232
	v_pack_b32_f16 v1, v31, v25
	v_pack_b32_f16 v0, v0, v5
	ds_write_b32 v15, v1 offset:1440
	ds_write_b32 v15, v0 offset:2880
	s_and_saveexec_b64 s[4:5], s[2:3]
	s_cbranch_execz .LBB0_29
; %bb.28:
	v_mul_f16_sdwa v0, v19, v9 dst_sel:DWORD dst_unused:UNUSED_PAD src0_sel:WORD_1 src1_sel:DWORD
	v_mul_f16_sdwa v1, v20, v11 dst_sel:DWORD dst_unused:UNUSED_PAD src0_sel:WORD_1 src1_sel:DWORD
	v_fma_f16 v0, v19, v12, -v0
	v_fma_f16 v1, v20, v13, -v1
	v_mul_f16_sdwa v3, v19, v12 dst_sel:DWORD dst_unused:UNUSED_PAD src0_sel:WORD_1 src1_sel:DWORD
	v_mul_f16_sdwa v4, v20, v13 dst_sel:DWORD dst_unused:UNUSED_PAD src0_sel:WORD_1 src1_sel:DWORD
	v_add_f16_e32 v2, v0, v1
	v_fma_f16 v3, v19, v9, v3
	v_fma_f16 v4, v20, v11, v4
	v_fma_f16 v2, v2, -0.5, v10
	v_sub_f16_e32 v5, v3, v4
	v_add_f16_e32 v7, v3, v4
	v_fma_f16 v6, v5, s6, v2
	v_fma_f16 v2, v5, s7, v2
	v_add_f16_e32 v5, v10, v0
	v_fma_f16 v7, v7, -0.5, v8
	v_sub_f16_e32 v0, v0, v1
	v_add_f16_e32 v5, v5, v1
	v_fma_f16 v1, v0, s7, v7
	v_fma_f16 v0, v0, s6, v7
	v_add_f16_e32 v3, v8, v3
	v_add_f16_e32 v3, v3, v4
	v_pack_b32_f16 v0, v0, v2
	v_pack_b32_f16 v3, v3, v5
	ds_write_b32 v35, v0 offset:2736
	v_pack_b32_f16 v0, v1, v6
	ds_write_b32 v35, v3 offset:1296
	ds_write_b32 v35, v0 offset:4176
.LBB0_29:
	s_or_b64 exec, exec, s[4:5]
	s_waitcnt lgkmcnt(0)
	s_barrier
	ds_read2_b32 v[0:1], v35 offset1:180
	s_mov_b32 s6, 0xc901e574
	s_mov_b32 s7, 0x3f4e573a
	v_mad_u64_u32 v[4:5], s[2:3], s10, v18, 0
	s_waitcnt lgkmcnt(0)
	v_lshrrev_b32_e32 v7, 16, v0
	v_mul_f16_sdwa v2, v42, v7 dst_sel:DWORD dst_unused:UNUSED_PAD src0_sel:WORD_1 src1_sel:DWORD
	v_fma_f16 v2, v42, v0, v2
	v_cvt_f32_f16_e32 v2, v2
	s_movk_i32 s12, 0x1ff
	v_mad_u64_u32 v[5:6], s[2:3], s11, v18, v[5:6]
	v_cvt_f64_f32_e32 v[2:3], v2
	s_movk_i32 s13, 0xffe
	v_mul_f16_sdwa v0, v42, v0 dst_sel:DWORD dst_unused:UNUSED_PAD src0_sel:WORD_1 src1_sel:DWORD
	v_fma_f16 v0, v42, v7, -v0
	v_mul_f64 v[2:3], v[2:3], s[6:7]
	v_cvt_f32_f16_e32 v0, v0
	s_movk_i32 s16, 0x40f
	s_mov_b32 s17, 0x8000
	v_and_or_b32 v2, v3, s12, v2
	v_cmp_ne_u32_e32 vcc, 0, v2
	v_lshrrev_b32_e32 v6, 8, v3
	v_bfe_u32 v8, v3, 20, 11
	v_cndmask_b32_e64 v2, 0, 1, vcc
	v_sub_u32_e32 v9, 0x3f1, v8
	v_and_or_b32 v10, v6, s13, v2
	v_or_b32_e32 v2, 0x1000, v10
	v_med3_i32 v6, v9, 0, 13
	v_lshrrev_b32_e32 v9, v6, v2
	v_lshlrev_b32_e32 v6, v6, v9
	v_cmp_ne_u32_e32 vcc, v6, v2
	v_cndmask_b32_e64 v2, 0, 1, vcc
	v_add_u32_e32 v8, 0xfffffc10, v8
	v_or_b32_e32 v2, v9, v2
	v_lshl_or_b32 v6, v8, 12, v10
	v_cmp_gt_i32_e32 vcc, 1, v8
	v_cndmask_b32_e32 v2, v6, v2, vcc
	v_and_b32_e32 v6, 7, v2
	v_cmp_lt_i32_e32 vcc, 5, v6
	v_cmp_eq_u32_e64 s[2:3], 3, v6
	v_cvt_f64_f32_e32 v[6:7], v0
	v_lshrrev_b32_e32 v2, 2, v2
	s_or_b64 vcc, s[2:3], vcc
	v_addc_co_u32_e32 v9, vcc, 0, v2, vcc
	v_mul_f64 v[6:7], v[6:7], s[6:7]
	v_mov_b32_e32 v2, 0x7c00
	v_cmp_gt_i32_e32 vcc, 31, v8
	v_cndmask_b32_e32 v0, v2, v9, vcc
	v_cmp_ne_u32_e32 vcc, 0, v10
	v_cndmask_b32_e64 v9, 0, 1, vcc
	v_lshl_or_b32 v9, v9, 9, v2
	v_cmp_eq_u32_e32 vcc, s16, v8
	v_cndmask_b32_e32 v0, v0, v9, vcc
	v_lshrrev_b32_e32 v3, 16, v3
	v_and_or_b32 v3, v3, s17, v0
	v_and_or_b32 v0, v7, s12, v6
	v_cmp_ne_u32_e32 vcc, 0, v0
	v_cndmask_b32_e64 v0, 0, 1, vcc
	v_lshrrev_b32_e32 v6, 8, v7
	v_bfe_u32 v8, v7, 20, 11
	v_and_or_b32 v0, v6, s13, v0
	v_sub_u32_e32 v9, 0x3f1, v8
	v_or_b32_e32 v6, 0x1000, v0
	v_med3_i32 v9, v9, 0, 13
	v_lshrrev_b32_e32 v10, v9, v6
	v_lshlrev_b32_e32 v9, v9, v10
	v_cmp_ne_u32_e32 vcc, v9, v6
	v_cndmask_b32_e64 v6, 0, 1, vcc
	v_or_b32_e32 v6, v10, v6
	v_add_u32_e32 v10, 0xfffffc10, v8
	v_lshl_or_b32 v8, v10, 12, v0
	v_cmp_gt_i32_e32 vcc, 1, v10
	v_cndmask_b32_e32 v6, v8, v6, vcc
	v_and_b32_e32 v8, 7, v6
	v_cmp_lt_i32_e32 vcc, 5, v8
	v_cmp_eq_u32_e64 s[2:3], 3, v8
	v_lshrrev_b32_e32 v6, 2, v6
	s_or_b64 vcc, s[2:3], vcc
	v_addc_co_u32_e32 v6, vcc, 0, v6, vcc
	v_cmp_gt_i32_e32 vcc, 31, v10
	v_mad_u64_u32 v[8:9], s[2:3], s8, v41, 0
	v_cndmask_b32_e32 v6, v2, v6, vcc
	v_cmp_ne_u32_e32 vcc, 0, v0
	v_cndmask_b32_e64 v0, 0, 1, vcc
	v_lshl_or_b32 v0, v0, 9, v2
	v_cmp_eq_u32_e32 vcc, s16, v10
	v_cndmask_b32_e32 v10, v6, v0, vcc
	v_mov_b32_e32 v0, v9
	v_lshrrev_b32_e32 v11, 16, v7
	v_mad_u64_u32 v[6:7], s[2:3], s9, v41, v[0:1]
	v_lshrrev_b32_e32 v0, 16, v1
	v_mul_f16_sdwa v7, v40, v0 dst_sel:DWORD dst_unused:UNUSED_PAD src0_sel:WORD_1 src1_sel:DWORD
	v_fma_f16 v7, v40, v1, v7
	v_cvt_f32_f16_e32 v7, v7
	v_mov_b32_e32 v9, v6
	v_and_or_b32 v10, v11, s17, v10
	v_and_b32_e32 v3, 0xffff, v3
	v_cvt_f64_f32_e32 v[6:7], v7
	v_lshl_or_b32 v10, v10, 16, v3
	v_lshlrev_b64 v[3:4], 2, v[4:5]
	v_mov_b32_e32 v11, s15
	v_mul_f64 v[5:6], v[6:7], s[6:7]
	v_add_co_u32_e32 v7, vcc, s14, v3
	v_addc_co_u32_e32 v11, vcc, v11, v4, vcc
	v_lshlrev_b64 v[3:4], 2, v[8:9]
	v_mul_f16_sdwa v1, v40, v1 dst_sel:DWORD dst_unused:UNUSED_PAD src0_sel:WORD_1 src1_sel:DWORD
	v_add_co_u32_e32 v3, vcc, v7, v3
	v_addc_co_u32_e32 v4, vcc, v11, v4, vcc
	v_and_or_b32 v5, v6, s12, v5
	v_cmp_ne_u32_e32 vcc, 0, v5
	v_fma_f16 v0, v40, v0, -v1
	v_cndmask_b32_e64 v5, 0, 1, vcc
	v_lshrrev_b32_e32 v7, 8, v6
	v_bfe_u32 v8, v6, 20, 11
	v_cvt_f32_f16_e32 v0, v0
	v_and_or_b32 v5, v7, s13, v5
	v_sub_u32_e32 v9, 0x3f1, v8
	v_or_b32_e32 v7, 0x1000, v5
	v_med3_i32 v9, v9, 0, 13
	global_store_dword v[3:4], v10, off
	v_lshrrev_b32_e32 v10, v9, v7
	v_lshlrev_b32_e32 v9, v9, v10
	v_cvt_f64_f32_e32 v[0:1], v0
	v_cmp_ne_u32_e32 vcc, v9, v7
	v_cndmask_b32_e64 v7, 0, 1, vcc
	v_add_u32_e32 v8, 0xfffffc10, v8
	v_or_b32_e32 v7, v10, v7
	v_lshl_or_b32 v9, v8, 12, v5
	v_cmp_gt_i32_e32 vcc, 1, v8
	v_cndmask_b32_e32 v7, v9, v7, vcc
	v_mul_f64 v[0:1], v[0:1], s[6:7]
	v_and_b32_e32 v9, 7, v7
	v_cmp_lt_i32_e32 vcc, 5, v9
	v_cmp_eq_u32_e64 s[2:3], 3, v9
	v_lshrrev_b32_e32 v7, 2, v7
	s_or_b64 vcc, s[2:3], vcc
	v_addc_co_u32_e32 v7, vcc, 0, v7, vcc
	v_cmp_gt_i32_e32 vcc, 31, v8
	v_cndmask_b32_e32 v7, v2, v7, vcc
	v_cmp_ne_u32_e32 vcc, 0, v5
	v_cndmask_b32_e64 v5, 0, 1, vcc
	v_lshl_or_b32 v5, v5, 9, v2
	v_cmp_eq_u32_e32 vcc, s16, v8
	v_and_or_b32 v0, v1, s12, v0
	v_cndmask_b32_e32 v5, v7, v5, vcc
	v_lshrrev_b32_e32 v6, 16, v6
	v_cmp_ne_u32_e32 vcc, 0, v0
	v_and_or_b32 v7, v6, s17, v5
	v_cndmask_b32_e64 v0, 0, 1, vcc
	v_lshrrev_b32_e32 v5, 8, v1
	v_bfe_u32 v6, v1, 20, 11
	v_and_or_b32 v0, v5, s13, v0
	v_sub_u32_e32 v8, 0x3f1, v6
	v_or_b32_e32 v5, 0x1000, v0
	v_med3_i32 v8, v8, 0, 13
	v_lshrrev_b32_e32 v9, v8, v5
	v_lshlrev_b32_e32 v8, v8, v9
	v_cmp_ne_u32_e32 vcc, v8, v5
	v_cndmask_b32_e64 v5, 0, 1, vcc
	v_add_u32_e32 v8, 0xfffffc10, v6
	v_or_b32_e32 v5, v9, v5
	v_lshl_or_b32 v6, v8, 12, v0
	v_cmp_gt_i32_e32 vcc, 1, v8
	v_cndmask_b32_e32 v5, v6, v5, vcc
	v_and_b32_e32 v6, 7, v5
	v_cmp_lt_i32_e32 vcc, 5, v6
	v_cmp_eq_u32_e64 s[2:3], 3, v6
	v_lshrrev_b32_e32 v5, 2, v5
	s_or_b64 vcc, s[2:3], vcc
	v_addc_co_u32_e32 v5, vcc, 0, v5, vcc
	v_cmp_gt_i32_e32 vcc, 31, v8
	v_cndmask_b32_e32 v9, v2, v5, vcc
	v_add_u32_e32 v5, 0x500, v35
	ds_read2_b32 v[5:6], v5 offset0:40 offset1:220
	v_cmp_ne_u32_e32 vcc, 0, v0
	v_cndmask_b32_e64 v0, 0, 1, vcc
	v_lshl_or_b32 v0, v0, 9, v2
	v_cmp_eq_u32_e32 vcc, s16, v8
	v_cndmask_b32_e32 v0, v9, v0, vcc
	v_lshrrev_b32_e32 v1, 16, v1
	s_waitcnt lgkmcnt(0)
	v_lshrrev_b32_e32 v9, 16, v5
	v_and_or_b32 v8, v1, s17, v0
	v_mul_f16_sdwa v0, v39, v9 dst_sel:DWORD dst_unused:UNUSED_PAD src0_sel:WORD_1 src1_sel:DWORD
	v_fma_f16 v0, v39, v5, v0
	v_cvt_f32_f16_e32 v0, v0
	s_mul_i32 s2, s9, 0xb4
	s_mul_hi_u32 s3, s8, 0xb4
	s_add_i32 s3, s3, s2
	v_cvt_f64_f32_e32 v[0:1], v0
	s_mul_i32 s2, s8, 0xb4
	s_lshl_b64 s[10:11], s[2:3], 2
	v_mov_b32_e32 v10, s11
	v_mul_f64 v[0:1], v[0:1], s[6:7]
	v_add_co_u32_e32 v3, vcc, s10, v3
	v_and_b32_e32 v7, 0xffff, v7
	v_addc_co_u32_e32 v4, vcc, v4, v10, vcc
	v_lshl_or_b32 v7, v8, 16, v7
	global_store_dword v[3:4], v7, off
	v_and_or_b32 v0, v1, s12, v0
	v_cmp_ne_u32_e32 vcc, 0, v0
	v_cndmask_b32_e64 v0, 0, 1, vcc
	v_lshrrev_b32_e32 v7, 8, v1
	v_bfe_u32 v8, v1, 20, 11
	v_and_or_b32 v0, v7, s13, v0
	v_sub_u32_e32 v11, 0x3f1, v8
	v_or_b32_e32 v7, 0x1000, v0
	v_med3_i32 v11, v11, 0, 13
	v_lshrrev_b32_e32 v12, v11, v7
	v_lshlrev_b32_e32 v11, v11, v12
	v_mul_f16_sdwa v5, v39, v5 dst_sel:DWORD dst_unused:UNUSED_PAD src0_sel:WORD_1 src1_sel:DWORD
	v_cmp_ne_u32_e32 vcc, v11, v7
	v_fma_f16 v5, v39, v9, -v5
	v_cndmask_b32_e64 v7, 0, 1, vcc
	v_add_u32_e32 v11, 0xfffffc10, v8
	v_cvt_f32_f16_e32 v5, v5
	v_or_b32_e32 v7, v12, v7
	v_lshl_or_b32 v8, v11, 12, v0
	v_cmp_gt_i32_e32 vcc, 1, v11
	v_cndmask_b32_e32 v7, v8, v7, vcc
	v_and_b32_e32 v8, 7, v7
	v_cmp_lt_i32_e32 vcc, 5, v8
	v_cmp_eq_u32_e64 s[2:3], 3, v8
	v_lshrrev_b32_e32 v9, 2, v7
	v_cvt_f64_f32_e32 v[7:8], v5
	s_or_b64 vcc, s[2:3], vcc
	v_addc_co_u32_e32 v5, vcc, 0, v9, vcc
	v_mul_f64 v[7:8], v[7:8], s[6:7]
	v_cmp_gt_i32_e32 vcc, 31, v11
	v_cndmask_b32_e32 v5, v2, v5, vcc
	v_cmp_ne_u32_e32 vcc, 0, v0
	v_cndmask_b32_e64 v0, 0, 1, vcc
	v_lshl_or_b32 v0, v0, 9, v2
	v_cmp_eq_u32_e32 vcc, s16, v11
	v_cndmask_b32_e32 v0, v5, v0, vcc
	v_lshrrev_b32_e32 v1, 16, v1
	v_and_or_b32 v5, v1, s17, v0
	v_and_or_b32 v0, v8, s12, v7
	v_cmp_ne_u32_e32 vcc, 0, v0
	v_cndmask_b32_e64 v0, 0, 1, vcc
	v_lshrrev_b32_e32 v1, 8, v8
	v_bfe_u32 v7, v8, 20, 11
	v_and_or_b32 v0, v1, s13, v0
	v_sub_u32_e32 v9, 0x3f1, v7
	v_or_b32_e32 v1, 0x1000, v0
	v_med3_i32 v9, v9, 0, 13
	v_lshrrev_b32_e32 v11, v9, v1
	v_lshlrev_b32_e32 v9, v9, v11
	v_cmp_ne_u32_e32 vcc, v9, v1
	v_cndmask_b32_e64 v1, 0, 1, vcc
	v_add_u32_e32 v7, 0xfffffc10, v7
	v_or_b32_e32 v1, v11, v1
	v_lshl_or_b32 v9, v7, 12, v0
	v_cmp_gt_i32_e32 vcc, 1, v7
	v_cndmask_b32_e32 v1, v9, v1, vcc
	v_and_b32_e32 v9, 7, v1
	v_cmp_lt_i32_e32 vcc, 5, v9
	v_cmp_eq_u32_e64 s[2:3], 3, v9
	v_lshrrev_b32_e32 v1, 2, v1
	s_or_b64 vcc, s[2:3], vcc
	v_addc_co_u32_e32 v1, vcc, 0, v1, vcc
	v_cmp_gt_i32_e32 vcc, 31, v7
	v_lshrrev_b32_e32 v11, 16, v6
	v_cndmask_b32_e32 v9, v2, v1, vcc
	v_mul_f16_sdwa v1, v38, v11 dst_sel:DWORD dst_unused:UNUSED_PAD src0_sel:WORD_1 src1_sel:DWORD
	v_fma_f16 v1, v38, v6, v1
	v_cvt_f32_f16_e32 v1, v1
	v_cmp_ne_u32_e32 vcc, 0, v0
	v_cndmask_b32_e64 v0, 0, 1, vcc
	v_lshl_or_b32 v12, v0, 9, v2
	v_cvt_f64_f32_e32 v[0:1], v1
	v_cmp_eq_u32_e32 vcc, s16, v7
	v_cndmask_b32_e32 v7, v9, v12, vcc
	v_lshrrev_b32_e32 v8, 16, v8
	v_mul_f64 v[0:1], v[0:1], s[6:7]
	v_add_co_u32_e32 v3, vcc, s10, v3
	v_and_or_b32 v7, v8, s17, v7
	v_and_b32_e32 v5, 0xffff, v5
	v_addc_co_u32_e32 v4, vcc, v4, v10, vcc
	v_lshl_or_b32 v5, v7, 16, v5
	v_and_or_b32 v0, v1, s12, v0
	v_cmp_ne_u32_e32 vcc, 0, v0
	global_store_dword v[3:4], v5, off
	v_cndmask_b32_e64 v0, 0, 1, vcc
	v_lshrrev_b32_e32 v5, 8, v1
	v_bfe_u32 v7, v1, 20, 11
	v_and_or_b32 v0, v5, s13, v0
	v_sub_u32_e32 v8, 0x3f1, v7
	v_or_b32_e32 v5, 0x1000, v0
	v_med3_i32 v8, v8, 0, 13
	v_lshrrev_b32_e32 v9, v8, v5
	v_lshlrev_b32_e32 v8, v8, v9
	v_mul_f16_sdwa v6, v38, v6 dst_sel:DWORD dst_unused:UNUSED_PAD src0_sel:WORD_1 src1_sel:DWORD
	v_cmp_ne_u32_e32 vcc, v8, v5
	v_fma_f16 v6, v38, v11, -v6
	v_cndmask_b32_e64 v5, 0, 1, vcc
	v_add_u32_e32 v7, 0xfffffc10, v7
	v_cvt_f32_f16_e32 v6, v6
	v_or_b32_e32 v5, v9, v5
	v_lshl_or_b32 v8, v7, 12, v0
	v_cmp_gt_i32_e32 vcc, 1, v7
	v_cndmask_b32_e32 v5, v8, v5, vcc
	v_and_b32_e32 v8, 7, v5
	v_cmp_lt_i32_e32 vcc, 5, v8
	v_cmp_eq_u32_e64 s[2:3], 3, v8
	v_lshrrev_b32_e32 v8, 2, v5
	v_cvt_f64_f32_e32 v[5:6], v6
	s_or_b64 vcc, s[2:3], vcc
	v_addc_co_u32_e32 v8, vcc, 0, v8, vcc
	v_mul_f64 v[5:6], v[5:6], s[6:7]
	v_cmp_gt_i32_e32 vcc, 31, v7
	v_cndmask_b32_e32 v8, v2, v8, vcc
	v_cmp_ne_u32_e32 vcc, 0, v0
	v_cndmask_b32_e64 v0, 0, 1, vcc
	v_lshl_or_b32 v0, v0, 9, v2
	v_cmp_eq_u32_e32 vcc, s16, v7
	v_cndmask_b32_e32 v0, v8, v0, vcc
	v_lshrrev_b32_e32 v1, 16, v1
	v_and_or_b32 v9, v1, s17, v0
	v_and_or_b32 v0, v6, s12, v5
	v_cmp_ne_u32_e32 vcc, 0, v0
	v_cndmask_b32_e64 v0, 0, 1, vcc
	v_lshrrev_b32_e32 v1, 8, v6
	v_and_or_b32 v5, v1, s13, v0
	v_bfe_u32 v1, v6, 20, 11
	v_sub_u32_e32 v7, 0x3f1, v1
	v_or_b32_e32 v0, 0x1000, v5
	v_med3_i32 v7, v7, 0, 13
	v_lshrrev_b32_e32 v8, v7, v0
	v_lshlrev_b32_e32 v7, v7, v8
	v_cmp_ne_u32_e32 vcc, v7, v0
	v_cndmask_b32_e64 v0, 0, 1, vcc
	v_add_u32_e32 v11, 0xfffffc10, v1
	v_or_b32_e32 v0, v8, v0
	v_lshl_or_b32 v1, v11, 12, v5
	v_cmp_gt_i32_e32 vcc, 1, v11
	v_cndmask_b32_e32 v0, v1, v0, vcc
	v_and_b32_e32 v1, 7, v0
	v_lshrrev_b32_e32 v7, 2, v0
	v_add_u32_e32 v0, 0xb00, v35
	v_cmp_lt_i32_e32 vcc, 5, v1
	v_cmp_eq_u32_e64 s[2:3], 3, v1
	ds_read2_b32 v[0:1], v0 offset0:16 offset1:196
	s_or_b64 vcc, s[2:3], vcc
	v_addc_co_u32_e32 v7, vcc, 0, v7, vcc
	v_cmp_gt_i32_e32 vcc, 31, v11
	s_waitcnt lgkmcnt(0)
	v_lshrrev_b32_e32 v13, 16, v0
	v_cndmask_b32_e32 v12, v2, v7, vcc
	v_mul_f16_sdwa v7, v37, v13 dst_sel:DWORD dst_unused:UNUSED_PAD src0_sel:WORD_1 src1_sel:DWORD
	v_fma_f16 v7, v37, v0, v7
	v_cvt_f32_f16_e32 v7, v7
	v_cmp_ne_u32_e32 vcc, 0, v5
	v_cndmask_b32_e64 v5, 0, 1, vcc
	v_lshl_or_b32 v5, v5, 9, v2
	v_cvt_f64_f32_e32 v[7:8], v7
	v_cmp_eq_u32_e32 vcc, s16, v11
	v_cndmask_b32_e32 v5, v12, v5, vcc
	v_lshrrev_b32_e32 v6, 16, v6
	v_and_or_b32 v11, v6, s17, v5
	v_mul_f64 v[5:6], v[7:8], s[6:7]
	v_add_co_u32_e32 v3, vcc, s10, v3
	v_and_b32_e32 v7, 0xffff, v9
	v_addc_co_u32_e32 v4, vcc, v4, v10, vcc
	v_lshl_or_b32 v7, v11, 16, v7
	global_store_dword v[3:4], v7, off
	v_and_or_b32 v5, v6, s12, v5
	v_cmp_ne_u32_e32 vcc, 0, v5
	v_cndmask_b32_e64 v5, 0, 1, vcc
	v_lshrrev_b32_e32 v7, 8, v6
	v_bfe_u32 v8, v6, 20, 11
	v_and_or_b32 v5, v7, s13, v5
	v_sub_u32_e32 v9, 0x3f1, v8
	v_or_b32_e32 v7, 0x1000, v5
	v_med3_i32 v9, v9, 0, 13
	v_lshrrev_b32_e32 v11, v9, v7
	v_lshlrev_b32_e32 v9, v9, v11
	v_mul_f16_sdwa v0, v37, v0 dst_sel:DWORD dst_unused:UNUSED_PAD src0_sel:WORD_1 src1_sel:DWORD
	v_cmp_ne_u32_e32 vcc, v9, v7
	v_fma_f16 v0, v37, v13, -v0
	v_cndmask_b32_e64 v7, 0, 1, vcc
	v_add_u32_e32 v9, 0xfffffc10, v8
	v_cvt_f32_f16_e32 v0, v0
	v_or_b32_e32 v7, v11, v7
	v_lshl_or_b32 v8, v9, 12, v5
	v_cmp_gt_i32_e32 vcc, 1, v9
	v_cndmask_b32_e32 v7, v8, v7, vcc
	v_and_b32_e32 v8, 7, v7
	v_cmp_lt_i32_e32 vcc, 5, v8
	v_cmp_eq_u32_e64 s[2:3], 3, v8
	v_lshrrev_b32_e32 v11, 2, v7
	v_cvt_f64_f32_e32 v[7:8], v0
	s_or_b64 vcc, s[2:3], vcc
	v_addc_co_u32_e32 v0, vcc, 0, v11, vcc
	v_mul_f64 v[7:8], v[7:8], s[6:7]
	v_cmp_gt_i32_e32 vcc, 31, v9
	v_cndmask_b32_e32 v0, v2, v0, vcc
	v_cmp_ne_u32_e32 vcc, 0, v5
	v_cndmask_b32_e64 v5, 0, 1, vcc
	v_lshl_or_b32 v5, v5, 9, v2
	v_cmp_eq_u32_e32 vcc, s16, v9
	v_cndmask_b32_e32 v0, v0, v5, vcc
	v_lshrrev_b32_e32 v5, 16, v6
	v_and_or_b32 v0, v5, s17, v0
	v_and_or_b32 v5, v8, s12, v7
	v_cmp_ne_u32_e32 vcc, 0, v5
	v_cndmask_b32_e64 v5, 0, 1, vcc
	v_lshrrev_b32_e32 v6, 8, v8
	v_bfe_u32 v7, v8, 20, 11
	v_and_or_b32 v5, v6, s13, v5
	v_sub_u32_e32 v9, 0x3f1, v7
	v_or_b32_e32 v6, 0x1000, v5
	v_med3_i32 v9, v9, 0, 13
	v_lshrrev_b32_e32 v11, v9, v6
	v_lshlrev_b32_e32 v9, v9, v11
	v_cmp_ne_u32_e32 vcc, v9, v6
	v_cndmask_b32_e64 v6, 0, 1, vcc
	v_add_u32_e32 v7, 0xfffffc10, v7
	v_or_b32_e32 v6, v11, v6
	v_lshl_or_b32 v9, v7, 12, v5
	v_cmp_gt_i32_e32 vcc, 1, v7
	v_cndmask_b32_e32 v6, v9, v6, vcc
	v_and_b32_e32 v9, 7, v6
	v_cmp_lt_i32_e32 vcc, 5, v9
	v_cmp_eq_u32_e64 s[2:3], 3, v9
	v_lshrrev_b32_e32 v6, 2, v6
	s_or_b64 vcc, s[2:3], vcc
	v_addc_co_u32_e32 v6, vcc, 0, v6, vcc
	v_cmp_gt_i32_e32 vcc, 31, v7
	v_lshrrev_b32_e32 v11, 16, v1
	v_cndmask_b32_e32 v9, v2, v6, vcc
	v_mul_f16_sdwa v6, v36, v11 dst_sel:DWORD dst_unused:UNUSED_PAD src0_sel:WORD_1 src1_sel:DWORD
	v_fma_f16 v6, v36, v1, v6
	v_cvt_f32_f16_e32 v6, v6
	v_cmp_ne_u32_e32 vcc, 0, v5
	v_cndmask_b32_e64 v5, 0, 1, vcc
	v_lshl_or_b32 v12, v5, 9, v2
	v_cvt_f64_f32_e32 v[5:6], v6
	v_cmp_eq_u32_e32 vcc, s16, v7
	v_cndmask_b32_e32 v7, v9, v12, vcc
	v_lshrrev_b32_e32 v8, 16, v8
	v_mul_f64 v[5:6], v[5:6], s[6:7]
	v_and_or_b32 v7, v8, s17, v7
	v_and_b32_e32 v0, 0xffff, v0
	v_add_co_u32_e32 v3, vcc, s10, v3
	v_lshl_or_b32 v0, v7, 16, v0
	v_addc_co_u32_e32 v4, vcc, v4, v10, vcc
	global_store_dword v[3:4], v0, off
	v_and_or_b32 v0, v6, s12, v5
	v_cmp_ne_u32_e32 vcc, 0, v0
	v_cndmask_b32_e64 v0, 0, 1, vcc
	v_lshrrev_b32_e32 v5, 8, v6
	v_bfe_u32 v7, v6, 20, 11
	v_and_or_b32 v5, v5, s13, v0
	v_sub_u32_e32 v8, 0x3f1, v7
	v_or_b32_e32 v0, 0x1000, v5
	v_med3_i32 v8, v8, 0, 13
	v_lshrrev_b32_e32 v9, v8, v0
	v_lshlrev_b32_e32 v8, v8, v9
	v_mul_f16_sdwa v1, v36, v1 dst_sel:DWORD dst_unused:UNUSED_PAD src0_sel:WORD_1 src1_sel:DWORD
	v_cmp_ne_u32_e32 vcc, v8, v0
	v_fma_f16 v1, v36, v11, -v1
	v_cndmask_b32_e64 v0, 0, 1, vcc
	v_add_u32_e32 v7, 0xfffffc10, v7
	v_cvt_f32_f16_e32 v1, v1
	v_or_b32_e32 v0, v9, v0
	v_lshl_or_b32 v8, v7, 12, v5
	v_cmp_gt_i32_e32 vcc, 1, v7
	v_cndmask_b32_e32 v0, v8, v0, vcc
	v_and_b32_e32 v8, 7, v0
	v_cmp_lt_i32_e32 vcc, 5, v8
	v_cmp_eq_u32_e64 s[2:3], 3, v8
	v_lshrrev_b32_e32 v8, 2, v0
	v_cvt_f64_f32_e32 v[0:1], v1
	s_or_b64 vcc, s[2:3], vcc
	v_addc_co_u32_e32 v8, vcc, 0, v8, vcc
	v_mul_f64 v[0:1], v[0:1], s[6:7]
	v_cmp_gt_i32_e32 vcc, 31, v7
	v_cndmask_b32_e32 v8, v2, v8, vcc
	v_cmp_ne_u32_e32 vcc, 0, v5
	v_cndmask_b32_e64 v5, 0, 1, vcc
	v_lshl_or_b32 v5, v5, 9, v2
	v_cmp_eq_u32_e32 vcc, s16, v7
	v_cndmask_b32_e32 v5, v8, v5, vcc
	v_and_or_b32 v0, v1, s12, v0
	v_lshrrev_b32_e32 v6, 16, v6
	v_cmp_ne_u32_e32 vcc, 0, v0
	v_and_or_b32 v5, v6, s17, v5
	v_cndmask_b32_e64 v0, 0, 1, vcc
	v_lshrrev_b32_e32 v6, 8, v1
	v_bfe_u32 v7, v1, 20, 11
	v_and_or_b32 v0, v6, s13, v0
	v_sub_u32_e32 v8, 0x3f1, v7
	v_or_b32_e32 v6, 0x1000, v0
	v_med3_i32 v8, v8, 0, 13
	v_lshrrev_b32_e32 v9, v8, v6
	v_lshlrev_b32_e32 v8, v8, v9
	v_cmp_ne_u32_e32 vcc, v8, v6
	v_cndmask_b32_e64 v6, 0, 1, vcc
	v_add_u32_e32 v7, 0xfffffc10, v7
	v_or_b32_e32 v6, v9, v6
	v_lshl_or_b32 v8, v7, 12, v0
	v_cmp_gt_i32_e32 vcc, 1, v7
	v_cndmask_b32_e32 v6, v8, v6, vcc
	v_and_b32_e32 v8, 7, v6
	v_cmp_lt_i32_e32 vcc, 5, v8
	v_cmp_eq_u32_e64 s[2:3], 3, v8
	v_lshrrev_b32_e32 v6, 2, v6
	s_or_b64 vcc, s[2:3], vcc
	v_addc_co_u32_e32 v6, vcc, 0, v6, vcc
	v_cmp_gt_i32_e32 vcc, 31, v7
	v_cndmask_b32_e32 v6, v2, v6, vcc
	v_cmp_ne_u32_e32 vcc, 0, v0
	v_cndmask_b32_e64 v0, 0, 1, vcc
	v_lshl_or_b32 v0, v0, 9, v2
	v_cmp_eq_u32_e32 vcc, s16, v7
	v_cndmask_b32_e32 v0, v6, v0, vcc
	v_lshrrev_b32_e32 v1, 16, v1
	v_and_or_b32 v0, v1, s17, v0
	v_and_b32_e32 v1, 0xffff, v5
	v_lshl_or_b32 v5, v0, 16, v1
	v_add_co_u32_e32 v0, vcc, s10, v3
	v_addc_co_u32_e32 v1, vcc, v4, v10, vcc
	global_store_dword v[0:1], v5, off
	s_and_b64 exec, exec, s[0:1]
	s_cbranch_execz .LBB0_31
; %bb.30:
	global_load_dword v5, v[16:17], off offset:432
	global_load_dword v11, v[16:17], off offset:1152
	v_add_u32_e32 v3, 0x100, v35
	ds_read2_b32 v[3:4], v3 offset0:44 offset1:224
	global_load_dword v12, v[16:17], off offset:1872
	global_load_dword v13, v[16:17], off offset:2592
	;; [unrolled: 1-line block ×4, first 2 shown]
	v_mov_b32_e32 v9, 0xfffff3a0
	v_mad_u64_u32 v[0:1], s[2:3], s8, v9, v[0:1]
	s_waitcnt lgkmcnt(0)
	v_lshrrev_b32_e32 v6, 16, v3
	v_lshrrev_b32_e32 v16, 16, v4
	s_mul_i32 s0, s9, 0xfffff3a0
	s_sub_i32 s0, s0, s8
	v_add_u32_e32 v1, s0, v1
	s_waitcnt vmcnt(5)
	v_mul_f16_sdwa v7, v6, v5 dst_sel:DWORD dst_unused:UNUSED_PAD src0_sel:DWORD src1_sel:WORD_1
	v_mul_f16_sdwa v8, v3, v5 dst_sel:DWORD dst_unused:UNUSED_PAD src0_sel:DWORD src1_sel:WORD_1
	v_fma_f16 v3, v3, v5, v7
	v_cvt_f32_f16_e32 v3, v3
	s_waitcnt vmcnt(4)
	v_mul_f16_sdwa v7, v16, v11 dst_sel:DWORD dst_unused:UNUSED_PAD src0_sel:DWORD src1_sel:WORD_1
	v_fma_f16 v5, v5, v6, -v8
	v_cvt_f32_f16_e32 v8, v5
	v_cvt_f64_f32_e32 v[5:6], v3
	v_fma_f16 v3, v4, v11, v7
	v_cvt_f32_f16_e32 v3, v3
	v_cvt_f64_f32_e32 v[7:8], v8
	v_mul_f64 v[5:6], v[5:6], s[6:7]
	v_mul_f16_sdwa v4, v4, v11 dst_sel:DWORD dst_unused:UNUSED_PAD src0_sel:DWORD src1_sel:WORD_1
	v_cvt_f64_f32_e32 v[9:10], v3
	v_mul_f64 v[7:8], v[7:8], s[6:7]
	v_fma_f16 v4, v11, v16, -v4
	v_cvt_f32_f16_e32 v4, v4
	v_mul_f64 v[9:10], v[9:10], s[6:7]
	v_and_or_b32 v3, v6, s12, v5
	v_cmp_ne_u32_e32 vcc, 0, v3
	v_lshrrev_b32_e32 v5, 8, v6
	v_and_or_b32 v7, v8, s12, v7
	v_bfe_u32 v17, v6, 20, 11
	v_cndmask_b32_e64 v3, 0, 1, vcc
	v_and_or_b32 v9, v10, s12, v9
	v_cmp_ne_u32_e32 vcc, 0, v7
	v_lshrrev_b32_e32 v18, 8, v8
	v_bfe_u32 v19, v8, 20, 11
	v_bfe_u32 v21, v10, 20, 11
	v_sub_u32_e32 v22, 0x3f1, v17
	v_cndmask_b32_e64 v7, 0, 1, vcc
	v_cmp_ne_u32_e32 vcc, 0, v9
	v_and_or_b32 v3, v5, s13, v3
	v_lshrrev_b32_e32 v20, 8, v10
	v_sub_u32_e32 v23, 0x3f1, v19
	v_cndmask_b32_e64 v9, 0, 1, vcc
	v_sub_u32_e32 v24, 0x3f1, v21
	v_med3_i32 v5, v22, 0, 13
	v_and_or_b32 v7, v18, s13, v7
	v_or_b32_e32 v22, 0x1000, v3
	v_add_u32_e32 v17, 0xfffffc10, v17
	v_med3_i32 v18, v23, 0, 13
	v_and_or_b32 v9, v20, s13, v9
	v_med3_i32 v20, v24, 0, 13
	v_cmp_ne_u32_e32 vcc, 0, v3
	v_or_b32_e32 v24, 0x1000, v7
	v_lshrrev_b32_e32 v27, v5, v22
	v_add_u32_e32 v19, 0xfffffc10, v19
	v_lshl_or_b32 v23, v17, 12, v3
	v_cndmask_b32_e64 v3, 0, 1, vcc
	v_cmp_ne_u32_e32 vcc, 0, v7
	v_or_b32_e32 v26, 0x1000, v9
	v_lshrrev_b32_e32 v28, v18, v24
	v_lshlrev_b32_e32 v5, v5, v27
	v_lshl_or_b32 v25, v19, 12, v7
	v_cndmask_b32_e64 v7, 0, 1, vcc
	v_lshrrev_b32_e32 v29, v20, v26
	v_lshlrev_b32_e32 v18, v18, v28
	v_cmp_ne_u32_e32 vcc, v5, v22
	v_lshlrev_b32_e32 v20, v20, v29
	v_cndmask_b32_e64 v5, 0, 1, vcc
	v_cmp_ne_u32_e32 vcc, v18, v24
	v_cndmask_b32_e64 v18, 0, 1, vcc
	v_cmp_ne_u32_e32 vcc, v20, v26
	v_cndmask_b32_e64 v20, 0, 1, vcc
	v_or_b32_e32 v5, v27, v5
	v_cmp_gt_i32_e32 vcc, 1, v17
	v_cndmask_b32_e32 v5, v23, v5, vcc
	v_or_b32_e32 v18, v28, v18
	v_cmp_gt_i32_e32 vcc, 1, v19
	v_and_b32_e32 v22, 7, v5
	v_cndmask_b32_e32 v18, v25, v18, vcc
	v_cmp_lt_i32_e32 vcc, 5, v22
	v_cmp_eq_u32_e64 s[0:1], 3, v22
	v_lshrrev_b32_e32 v5, 2, v5
	v_and_b32_e32 v23, 7, v18
	s_or_b64 vcc, s[0:1], vcc
	v_cmp_lt_i32_e64 s[2:3], 5, v23
	v_cmp_eq_u32_e64 s[4:5], 3, v23
	v_addc_co_u32_e32 v5, vcc, 0, v5, vcc
	v_lshrrev_b32_e32 v18, 2, v18
	s_or_b64 vcc, s[4:5], s[2:3]
	v_addc_co_u32_e32 v18, vcc, 0, v18, vcc
	v_cmp_gt_i32_e32 vcc, 31, v17
	v_cndmask_b32_e32 v5, v2, v5, vcc
	v_cmp_gt_i32_e32 vcc, 31, v19
	v_lshl_or_b32 v3, v3, 9, v2
	v_cndmask_b32_e32 v18, v2, v18, vcc
	v_cmp_eq_u32_e32 vcc, s16, v17
	v_lshrrev_b32_e32 v6, 16, v6
	v_lshl_or_b32 v7, v7, 9, v2
	v_cndmask_b32_e32 v3, v5, v3, vcc
	v_cmp_eq_u32_e32 vcc, s16, v19
	v_lshrrev_b32_e32 v8, 16, v8
	v_cndmask_b32_e32 v5, v18, v7, vcc
	v_and_or_b32 v3, v6, s17, v3
	v_and_or_b32 v5, v8, s17, v5
	v_and_b32_e32 v3, 0xffff, v3
	v_lshl_or_b32 v3, v5, 16, v3
	v_add_u32_e32 v5, 0xfffffc10, v21
	v_or_b32_e32 v20, v29, v20
	global_store_dword v[0:1], v3, off
	v_lshl_or_b32 v3, v5, 12, v9
	v_cmp_gt_i32_e32 vcc, 1, v5
	v_cndmask_b32_e32 v3, v3, v20, vcc
	v_and_b32_e32 v6, 7, v3
	v_cmp_lt_i32_e32 vcc, 5, v6
	v_cmp_eq_u32_e64 s[0:1], 3, v6
	v_lshrrev_b32_e32 v6, 2, v3
	v_cvt_f64_f32_e32 v[3:4], v4
	s_or_b64 vcc, s[0:1], vcc
	v_addc_co_u32_e32 v6, vcc, 0, v6, vcc
	v_mul_f64 v[3:4], v[3:4], s[6:7]
	v_cmp_gt_i32_e32 vcc, 31, v5
	v_cndmask_b32_e32 v6, v2, v6, vcc
	v_cmp_ne_u32_e32 vcc, 0, v9
	v_cndmask_b32_e64 v7, 0, 1, vcc
	v_lshl_or_b32 v7, v7, 9, v2
	v_cmp_eq_u32_e32 vcc, s16, v5
	v_cndmask_b32_e32 v5, v6, v7, vcc
	v_and_or_b32 v3, v4, s12, v3
	v_lshrrev_b32_e32 v6, 16, v10
	v_cmp_ne_u32_e32 vcc, 0, v3
	v_and_or_b32 v9, v6, s17, v5
	v_cndmask_b32_e64 v3, 0, 1, vcc
	v_lshrrev_b32_e32 v5, 8, v4
	v_bfe_u32 v6, v4, 20, 11
	v_and_or_b32 v3, v5, s13, v3
	v_sub_u32_e32 v7, 0x3f1, v6
	v_or_b32_e32 v5, 0x1000, v3
	v_med3_i32 v7, v7, 0, 13
	v_lshrrev_b32_e32 v8, v7, v5
	v_lshlrev_b32_e32 v7, v7, v8
	v_cmp_ne_u32_e32 vcc, v7, v5
	v_cndmask_b32_e64 v5, 0, 1, vcc
	v_add_u32_e32 v7, 0xfffffc10, v6
	v_or_b32_e32 v5, v8, v5
	v_lshl_or_b32 v6, v7, 12, v3
	v_cmp_gt_i32_e32 vcc, 1, v7
	v_cndmask_b32_e32 v5, v6, v5, vcc
	v_and_b32_e32 v6, 7, v5
	v_cmp_lt_i32_e32 vcc, 5, v6
	v_cmp_eq_u32_e64 s[0:1], 3, v6
	v_lshrrev_b32_e32 v5, 2, v5
	s_or_b64 vcc, s[0:1], vcc
	v_addc_co_u32_e32 v8, vcc, 0, v5, vcc
	v_add_u32_e32 v5, 0x700, v35
	ds_read2_b32 v[5:6], v5 offset0:20 offset1:200
	v_cmp_gt_i32_e32 vcc, 31, v7
	v_cndmask_b32_e32 v8, v2, v8, vcc
	v_cmp_ne_u32_e32 vcc, 0, v3
	v_cndmask_b32_e64 v3, 0, 1, vcc
	s_waitcnt lgkmcnt(0)
	v_lshrrev_b32_e32 v10, 16, v5
	s_waitcnt vmcnt(4)
	v_mul_f16_sdwa v11, v10, v12 dst_sel:DWORD dst_unused:UNUSED_PAD src0_sel:DWORD src1_sel:WORD_1
	v_fma_f16 v11, v5, v12, v11
	v_cvt_f32_f16_e32 v11, v11
	v_lshl_or_b32 v3, v3, 9, v2
	v_cmp_eq_u32_e32 vcc, s16, v7
	v_cndmask_b32_e32 v3, v8, v3, vcc
	v_cvt_f64_f32_e32 v[7:8], v11
	v_lshrrev_b32_e32 v4, 16, v4
	v_and_or_b32 v11, v4, s17, v3
	v_and_b32_e32 v9, 0xffff, v9
	v_mul_f64 v[3:4], v[7:8], s[6:7]
	v_lshl_or_b32 v7, v11, 16, v9
	v_mov_b32_e32 v9, s11
	v_add_co_u32_e32 v0, vcc, s10, v0
	v_addc_co_u32_e32 v1, vcc, v1, v9, vcc
	global_store_dword v[0:1], v7, off
	v_and_or_b32 v3, v4, s12, v3
	v_cmp_ne_u32_e32 vcc, 0, v3
	v_cndmask_b32_e64 v3, 0, 1, vcc
	v_lshrrev_b32_e32 v7, 8, v4
	v_bfe_u32 v8, v4, 20, 11
	v_and_or_b32 v3, v7, s13, v3
	v_sub_u32_e32 v11, 0x3f1, v8
	v_or_b32_e32 v7, 0x1000, v3
	v_med3_i32 v11, v11, 0, 13
	v_lshrrev_b32_e32 v16, v11, v7
	v_lshlrev_b32_e32 v11, v11, v16
	v_mul_f16_sdwa v5, v5, v12 dst_sel:DWORD dst_unused:UNUSED_PAD src0_sel:DWORD src1_sel:WORD_1
	v_cmp_ne_u32_e32 vcc, v11, v7
	v_fma_f16 v5, v12, v10, -v5
	v_cndmask_b32_e64 v7, 0, 1, vcc
	v_add_u32_e32 v11, 0xfffffc10, v8
	v_cvt_f32_f16_e32 v5, v5
	v_or_b32_e32 v7, v16, v7
	v_lshl_or_b32 v8, v11, 12, v3
	v_cmp_gt_i32_e32 vcc, 1, v11
	v_cndmask_b32_e32 v7, v8, v7, vcc
	v_and_b32_e32 v8, 7, v7
	v_cmp_lt_i32_e32 vcc, 5, v8
	v_cmp_eq_u32_e64 s[0:1], 3, v8
	v_lshrrev_b32_e32 v10, 2, v7
	v_cvt_f64_f32_e32 v[7:8], v5
	s_or_b64 vcc, s[0:1], vcc
	v_addc_co_u32_e32 v5, vcc, 0, v10, vcc
	v_mul_f64 v[7:8], v[7:8], s[6:7]
	v_cmp_gt_i32_e32 vcc, 31, v11
	v_cndmask_b32_e32 v5, v2, v5, vcc
	v_cmp_ne_u32_e32 vcc, 0, v3
	v_cndmask_b32_e64 v3, 0, 1, vcc
	v_lshl_or_b32 v3, v3, 9, v2
	v_cmp_eq_u32_e32 vcc, s16, v11
	v_cndmask_b32_e32 v3, v5, v3, vcc
	v_lshrrev_b32_e32 v4, 16, v4
	v_and_or_b32 v5, v4, s17, v3
	v_and_or_b32 v3, v8, s12, v7
	v_cmp_ne_u32_e32 vcc, 0, v3
	v_cndmask_b32_e64 v3, 0, 1, vcc
	v_lshrrev_b32_e32 v4, 8, v8
	v_bfe_u32 v7, v8, 20, 11
	v_and_or_b32 v3, v4, s13, v3
	v_sub_u32_e32 v10, 0x3f1, v7
	v_or_b32_e32 v4, 0x1000, v3
	v_med3_i32 v10, v10, 0, 13
	v_lshrrev_b32_e32 v11, v10, v4
	v_lshlrev_b32_e32 v10, v10, v11
	v_cmp_ne_u32_e32 vcc, v10, v4
	v_cndmask_b32_e64 v4, 0, 1, vcc
	v_add_u32_e32 v7, 0xfffffc10, v7
	v_or_b32_e32 v4, v11, v4
	v_lshl_or_b32 v10, v7, 12, v3
	v_cmp_gt_i32_e32 vcc, 1, v7
	v_cndmask_b32_e32 v4, v10, v4, vcc
	v_and_b32_e32 v10, 7, v4
	v_cmp_lt_i32_e32 vcc, 5, v10
	v_cmp_eq_u32_e64 s[0:1], 3, v10
	v_lshrrev_b32_e32 v4, 2, v4
	s_or_b64 vcc, s[0:1], vcc
	v_addc_co_u32_e32 v4, vcc, 0, v4, vcc
	v_cmp_gt_i32_e32 vcc, 31, v7
	v_lshrrev_b32_e32 v11, 16, v6
	v_cndmask_b32_e32 v10, v2, v4, vcc
	s_waitcnt vmcnt(4)
	v_mul_f16_sdwa v4, v11, v13 dst_sel:DWORD dst_unused:UNUSED_PAD src0_sel:DWORD src1_sel:WORD_1
	v_fma_f16 v4, v6, v13, v4
	v_cvt_f32_f16_e32 v4, v4
	v_cmp_ne_u32_e32 vcc, 0, v3
	v_cndmask_b32_e64 v3, 0, 1, vcc
	v_lshl_or_b32 v12, v3, 9, v2
	v_cvt_f64_f32_e32 v[3:4], v4
	v_cmp_eq_u32_e32 vcc, s16, v7
	v_cndmask_b32_e32 v7, v10, v12, vcc
	v_lshrrev_b32_e32 v8, 16, v8
	v_mul_f64 v[3:4], v[3:4], s[6:7]
	v_add_co_u32_e32 v0, vcc, s10, v0
	v_and_or_b32 v7, v8, s17, v7
	v_and_b32_e32 v5, 0xffff, v5
	v_addc_co_u32_e32 v1, vcc, v1, v9, vcc
	v_lshl_or_b32 v5, v7, 16, v5
	v_and_or_b32 v3, v4, s12, v3
	v_cmp_ne_u32_e32 vcc, 0, v3
	global_store_dword v[0:1], v5, off
	v_cndmask_b32_e64 v3, 0, 1, vcc
	v_lshrrev_b32_e32 v5, 8, v4
	v_bfe_u32 v7, v4, 20, 11
	v_and_or_b32 v3, v5, s13, v3
	v_sub_u32_e32 v8, 0x3f1, v7
	v_or_b32_e32 v5, 0x1000, v3
	v_med3_i32 v8, v8, 0, 13
	v_lshrrev_b32_e32 v10, v8, v5
	v_lshlrev_b32_e32 v8, v8, v10
	v_mul_f16_sdwa v6, v6, v13 dst_sel:DWORD dst_unused:UNUSED_PAD src0_sel:DWORD src1_sel:WORD_1
	v_cmp_ne_u32_e32 vcc, v8, v5
	v_fma_f16 v6, v13, v11, -v6
	v_cndmask_b32_e64 v5, 0, 1, vcc
	v_add_u32_e32 v7, 0xfffffc10, v7
	v_cvt_f32_f16_e32 v6, v6
	v_or_b32_e32 v5, v10, v5
	v_lshl_or_b32 v8, v7, 12, v3
	v_cmp_gt_i32_e32 vcc, 1, v7
	v_cndmask_b32_e32 v5, v8, v5, vcc
	v_and_b32_e32 v8, 7, v5
	v_cmp_lt_i32_e32 vcc, 5, v8
	v_cmp_eq_u32_e64 s[0:1], 3, v8
	v_lshrrev_b32_e32 v8, 2, v5
	v_cvt_f64_f32_e32 v[5:6], v6
	s_or_b64 vcc, s[0:1], vcc
	v_addc_co_u32_e32 v8, vcc, 0, v8, vcc
	v_mul_f64 v[5:6], v[5:6], s[6:7]
	v_cmp_gt_i32_e32 vcc, 31, v7
	v_cndmask_b32_e32 v8, v2, v8, vcc
	v_cmp_ne_u32_e32 vcc, 0, v3
	v_cndmask_b32_e64 v3, 0, 1, vcc
	v_lshl_or_b32 v3, v3, 9, v2
	v_cmp_eq_u32_e32 vcc, s16, v7
	v_cndmask_b32_e32 v3, v8, v3, vcc
	v_lshrrev_b32_e32 v4, 16, v4
	v_and_or_b32 v10, v4, s17, v3
	v_and_or_b32 v3, v6, s12, v5
	v_cmp_ne_u32_e32 vcc, 0, v3
	v_cndmask_b32_e64 v3, 0, 1, vcc
	v_lshrrev_b32_e32 v4, 8, v6
	v_and_or_b32 v5, v4, s13, v3
	v_bfe_u32 v4, v6, 20, 11
	v_sub_u32_e32 v7, 0x3f1, v4
	v_or_b32_e32 v3, 0x1000, v5
	v_med3_i32 v7, v7, 0, 13
	v_lshrrev_b32_e32 v8, v7, v3
	v_lshlrev_b32_e32 v7, v7, v8
	v_cmp_ne_u32_e32 vcc, v7, v3
	v_cndmask_b32_e64 v3, 0, 1, vcc
	v_add_u32_e32 v11, 0xfffffc10, v4
	v_or_b32_e32 v3, v8, v3
	v_lshl_or_b32 v4, v11, 12, v5
	v_cmp_gt_i32_e32 vcc, 1, v11
	v_cndmask_b32_e32 v3, v4, v3, vcc
	v_and_b32_e32 v4, 7, v3
	v_lshrrev_b32_e32 v7, 2, v3
	v_add_u32_e32 v3, 0xc00, v35
	v_cmp_lt_i32_e32 vcc, 5, v4
	v_cmp_eq_u32_e64 s[0:1], 3, v4
	ds_read2_b32 v[3:4], v3 offset0:60 offset1:240
	s_or_b64 vcc, s[0:1], vcc
	v_addc_co_u32_e32 v7, vcc, 0, v7, vcc
	v_cmp_gt_i32_e32 vcc, 31, v11
	s_waitcnt lgkmcnt(0)
	v_lshrrev_b32_e32 v13, 16, v3
	v_cndmask_b32_e32 v12, v2, v7, vcc
	s_waitcnt vmcnt(4)
	v_mul_f16_sdwa v7, v13, v14 dst_sel:DWORD dst_unused:UNUSED_PAD src0_sel:DWORD src1_sel:WORD_1
	v_fma_f16 v7, v3, v14, v7
	v_cvt_f32_f16_e32 v7, v7
	v_cmp_ne_u32_e32 vcc, 0, v5
	v_cndmask_b32_e64 v5, 0, 1, vcc
	v_lshl_or_b32 v5, v5, 9, v2
	v_cvt_f64_f32_e32 v[7:8], v7
	v_cmp_eq_u32_e32 vcc, s16, v11
	v_cndmask_b32_e32 v5, v12, v5, vcc
	v_lshrrev_b32_e32 v6, 16, v6
	v_and_or_b32 v11, v6, s17, v5
	v_mul_f64 v[5:6], v[7:8], s[6:7]
	v_add_co_u32_e32 v0, vcc, s10, v0
	v_and_b32_e32 v7, 0xffff, v10
	v_addc_co_u32_e32 v1, vcc, v1, v9, vcc
	v_lshl_or_b32 v7, v11, 16, v7
	global_store_dword v[0:1], v7, off
	v_and_or_b32 v5, v6, s12, v5
	v_cmp_ne_u32_e32 vcc, 0, v5
	v_cndmask_b32_e64 v5, 0, 1, vcc
	v_lshrrev_b32_e32 v7, 8, v6
	v_bfe_u32 v8, v6, 20, 11
	v_and_or_b32 v5, v7, s13, v5
	v_sub_u32_e32 v10, 0x3f1, v8
	v_or_b32_e32 v7, 0x1000, v5
	v_med3_i32 v10, v10, 0, 13
	v_lshrrev_b32_e32 v11, v10, v7
	v_lshlrev_b32_e32 v10, v10, v11
	v_mul_f16_sdwa v3, v3, v14 dst_sel:DWORD dst_unused:UNUSED_PAD src0_sel:DWORD src1_sel:WORD_1
	v_cmp_ne_u32_e32 vcc, v10, v7
	v_fma_f16 v3, v14, v13, -v3
	v_cndmask_b32_e64 v7, 0, 1, vcc
	v_add_u32_e32 v10, 0xfffffc10, v8
	v_cvt_f32_f16_e32 v3, v3
	v_or_b32_e32 v7, v11, v7
	v_lshl_or_b32 v8, v10, 12, v5
	v_cmp_gt_i32_e32 vcc, 1, v10
	v_cndmask_b32_e32 v7, v8, v7, vcc
	v_and_b32_e32 v8, 7, v7
	v_cmp_lt_i32_e32 vcc, 5, v8
	v_cmp_eq_u32_e64 s[0:1], 3, v8
	v_lshrrev_b32_e32 v11, 2, v7
	v_cvt_f64_f32_e32 v[7:8], v3
	s_or_b64 vcc, s[0:1], vcc
	v_addc_co_u32_e32 v3, vcc, 0, v11, vcc
	v_mul_f64 v[7:8], v[7:8], s[6:7]
	v_cmp_gt_i32_e32 vcc, 31, v10
	v_cndmask_b32_e32 v3, v2, v3, vcc
	v_cmp_ne_u32_e32 vcc, 0, v5
	v_cndmask_b32_e64 v5, 0, 1, vcc
	v_lshl_or_b32 v5, v5, 9, v2
	v_cmp_eq_u32_e32 vcc, s16, v10
	v_cndmask_b32_e32 v3, v3, v5, vcc
	v_lshrrev_b32_e32 v5, 16, v6
	v_and_or_b32 v3, v5, s17, v3
	v_and_or_b32 v5, v8, s12, v7
	v_cmp_ne_u32_e32 vcc, 0, v5
	v_cndmask_b32_e64 v5, 0, 1, vcc
	v_lshrrev_b32_e32 v6, 8, v8
	v_bfe_u32 v7, v8, 20, 11
	v_and_or_b32 v5, v6, s13, v5
	v_sub_u32_e32 v10, 0x3f1, v7
	v_or_b32_e32 v6, 0x1000, v5
	v_med3_i32 v10, v10, 0, 13
	v_lshrrev_b32_e32 v11, v10, v6
	v_lshlrev_b32_e32 v10, v10, v11
	v_cmp_ne_u32_e32 vcc, v10, v6
	v_cndmask_b32_e64 v6, 0, 1, vcc
	v_add_u32_e32 v7, 0xfffffc10, v7
	v_or_b32_e32 v6, v11, v6
	v_lshl_or_b32 v10, v7, 12, v5
	v_cmp_gt_i32_e32 vcc, 1, v7
	v_cndmask_b32_e32 v6, v10, v6, vcc
	v_and_b32_e32 v10, 7, v6
	v_cmp_lt_i32_e32 vcc, 5, v10
	v_cmp_eq_u32_e64 s[0:1], 3, v10
	v_lshrrev_b32_e32 v6, 2, v6
	s_or_b64 vcc, s[0:1], vcc
	v_addc_co_u32_e32 v6, vcc, 0, v6, vcc
	v_cmp_gt_i32_e32 vcc, 31, v7
	v_lshrrev_b32_e32 v11, 16, v4
	v_cndmask_b32_e32 v10, v2, v6, vcc
	s_waitcnt vmcnt(4)
	v_mul_f16_sdwa v6, v11, v15 dst_sel:DWORD dst_unused:UNUSED_PAD src0_sel:DWORD src1_sel:WORD_1
	v_fma_f16 v6, v4, v15, v6
	v_cvt_f32_f16_e32 v6, v6
	v_cmp_ne_u32_e32 vcc, 0, v5
	v_cndmask_b32_e64 v5, 0, 1, vcc
	v_lshl_or_b32 v12, v5, 9, v2
	v_cvt_f64_f32_e32 v[5:6], v6
	v_cmp_eq_u32_e32 vcc, s16, v7
	v_cndmask_b32_e32 v7, v10, v12, vcc
	v_lshrrev_b32_e32 v8, 16, v8
	v_mul_f64 v[5:6], v[5:6], s[6:7]
	v_and_or_b32 v7, v8, s17, v7
	v_and_b32_e32 v3, 0xffff, v3
	v_add_co_u32_e32 v0, vcc, s10, v0
	v_lshl_or_b32 v3, v7, 16, v3
	v_addc_co_u32_e32 v1, vcc, v1, v9, vcc
	global_store_dword v[0:1], v3, off
	v_and_or_b32 v3, v6, s12, v5
	v_cmp_ne_u32_e32 vcc, 0, v3
	v_cndmask_b32_e64 v3, 0, 1, vcc
	v_lshrrev_b32_e32 v5, 8, v6
	v_bfe_u32 v7, v6, 20, 11
	v_and_or_b32 v5, v5, s13, v3
	v_sub_u32_e32 v8, 0x3f1, v7
	v_or_b32_e32 v3, 0x1000, v5
	v_med3_i32 v8, v8, 0, 13
	v_lshrrev_b32_e32 v10, v8, v3
	v_lshlrev_b32_e32 v8, v8, v10
	v_mul_f16_sdwa v4, v4, v15 dst_sel:DWORD dst_unused:UNUSED_PAD src0_sel:DWORD src1_sel:WORD_1
	v_cmp_ne_u32_e32 vcc, v8, v3
	v_fma_f16 v4, v15, v11, -v4
	v_cndmask_b32_e64 v3, 0, 1, vcc
	v_add_u32_e32 v7, 0xfffffc10, v7
	v_cvt_f32_f16_e32 v4, v4
	v_or_b32_e32 v3, v10, v3
	v_lshl_or_b32 v8, v7, 12, v5
	v_cmp_gt_i32_e32 vcc, 1, v7
	v_cndmask_b32_e32 v3, v8, v3, vcc
	v_and_b32_e32 v8, 7, v3
	v_cmp_lt_i32_e32 vcc, 5, v8
	v_cmp_eq_u32_e64 s[0:1], 3, v8
	v_lshrrev_b32_e32 v8, 2, v3
	v_cvt_f64_f32_e32 v[3:4], v4
	s_or_b64 vcc, s[0:1], vcc
	v_addc_co_u32_e32 v8, vcc, 0, v8, vcc
	v_mul_f64 v[3:4], v[3:4], s[6:7]
	v_cmp_gt_i32_e32 vcc, 31, v7
	v_cndmask_b32_e32 v8, v2, v8, vcc
	v_cmp_ne_u32_e32 vcc, 0, v5
	v_cndmask_b32_e64 v5, 0, 1, vcc
	v_lshl_or_b32 v5, v5, 9, v2
	v_cmp_eq_u32_e32 vcc, s16, v7
	v_cndmask_b32_e32 v5, v8, v5, vcc
	v_and_or_b32 v3, v4, s12, v3
	v_lshrrev_b32_e32 v6, 16, v6
	v_cmp_ne_u32_e32 vcc, 0, v3
	v_and_or_b32 v5, v6, s17, v5
	v_cndmask_b32_e64 v3, 0, 1, vcc
	v_lshrrev_b32_e32 v6, 8, v4
	v_bfe_u32 v7, v4, 20, 11
	v_and_or_b32 v3, v6, s13, v3
	v_sub_u32_e32 v8, 0x3f1, v7
	v_or_b32_e32 v6, 0x1000, v3
	v_med3_i32 v8, v8, 0, 13
	v_lshrrev_b32_e32 v10, v8, v6
	v_lshlrev_b32_e32 v8, v8, v10
	v_cmp_ne_u32_e32 vcc, v8, v6
	v_cndmask_b32_e64 v6, 0, 1, vcc
	v_add_u32_e32 v7, 0xfffffc10, v7
	v_or_b32_e32 v6, v10, v6
	v_lshl_or_b32 v8, v7, 12, v3
	v_cmp_gt_i32_e32 vcc, 1, v7
	v_cndmask_b32_e32 v6, v8, v6, vcc
	v_and_b32_e32 v8, 7, v6
	v_cmp_lt_i32_e32 vcc, 5, v8
	v_cmp_eq_u32_e64 s[0:1], 3, v8
	v_lshrrev_b32_e32 v6, 2, v6
	s_or_b64 vcc, s[0:1], vcc
	v_addc_co_u32_e32 v6, vcc, 0, v6, vcc
	v_cmp_gt_i32_e32 vcc, 31, v7
	v_cndmask_b32_e32 v6, v2, v6, vcc
	v_cmp_ne_u32_e32 vcc, 0, v3
	v_cndmask_b32_e64 v3, 0, 1, vcc
	v_lshl_or_b32 v2, v3, 9, v2
	v_cmp_eq_u32_e32 vcc, s16, v7
	v_cndmask_b32_e32 v2, v6, v2, vcc
	v_lshrrev_b32_e32 v3, 16, v4
	v_and_or_b32 v2, v3, s17, v2
	v_and_b32_e32 v3, 0xffff, v5
	v_add_co_u32_e32 v0, vcc, s10, v0
	v_lshl_or_b32 v2, v2, 16, v3
	v_addc_co_u32_e32 v1, vcc, v1, v9, vcc
	global_store_dword v[0:1], v2, off
.LBB0_31:
	s_endpgm
	.section	.rodata,"a",@progbits
	.p2align	6, 0x0
	.amdhsa_kernel bluestein_single_fwd_len1080_dim1_half_op_CI_CI
		.amdhsa_group_segment_fixed_size 8640
		.amdhsa_private_segment_fixed_size 0
		.amdhsa_kernarg_size 104
		.amdhsa_user_sgpr_count 6
		.amdhsa_user_sgpr_private_segment_buffer 1
		.amdhsa_user_sgpr_dispatch_ptr 0
		.amdhsa_user_sgpr_queue_ptr 0
		.amdhsa_user_sgpr_kernarg_segment_ptr 1
		.amdhsa_user_sgpr_dispatch_id 0
		.amdhsa_user_sgpr_flat_scratch_init 0
		.amdhsa_user_sgpr_private_segment_size 0
		.amdhsa_uses_dynamic_stack 0
		.amdhsa_system_sgpr_private_segment_wavefront_offset 0
		.amdhsa_system_sgpr_workgroup_id_x 1
		.amdhsa_system_sgpr_workgroup_id_y 0
		.amdhsa_system_sgpr_workgroup_id_z 0
		.amdhsa_system_sgpr_workgroup_info 0
		.amdhsa_system_vgpr_workitem_id 0
		.amdhsa_next_free_vgpr 83
		.amdhsa_next_free_sgpr 22
		.amdhsa_reserve_vcc 1
		.amdhsa_reserve_flat_scratch 0
		.amdhsa_float_round_mode_32 0
		.amdhsa_float_round_mode_16_64 0
		.amdhsa_float_denorm_mode_32 3
		.amdhsa_float_denorm_mode_16_64 3
		.amdhsa_dx10_clamp 1
		.amdhsa_ieee_mode 1
		.amdhsa_fp16_overflow 0
		.amdhsa_exception_fp_ieee_invalid_op 0
		.amdhsa_exception_fp_denorm_src 0
		.amdhsa_exception_fp_ieee_div_zero 0
		.amdhsa_exception_fp_ieee_overflow 0
		.amdhsa_exception_fp_ieee_underflow 0
		.amdhsa_exception_fp_ieee_inexact 0
		.amdhsa_exception_int_div_zero 0
	.end_amdhsa_kernel
	.text
.Lfunc_end0:
	.size	bluestein_single_fwd_len1080_dim1_half_op_CI_CI, .Lfunc_end0-bluestein_single_fwd_len1080_dim1_half_op_CI_CI
                                        ; -- End function
	.section	.AMDGPU.csdata,"",@progbits
; Kernel info:
; codeLenInByte = 17580
; NumSgprs: 26
; NumVgprs: 83
; ScratchSize: 0
; MemoryBound: 0
; FloatMode: 240
; IeeeMode: 1
; LDSByteSize: 8640 bytes/workgroup (compile time only)
; SGPRBlocks: 3
; VGPRBlocks: 20
; NumSGPRsForWavesPerEU: 26
; NumVGPRsForWavesPerEU: 83
; Occupancy: 3
; WaveLimiterHint : 1
; COMPUTE_PGM_RSRC2:SCRATCH_EN: 0
; COMPUTE_PGM_RSRC2:USER_SGPR: 6
; COMPUTE_PGM_RSRC2:TRAP_HANDLER: 0
; COMPUTE_PGM_RSRC2:TGID_X_EN: 1
; COMPUTE_PGM_RSRC2:TGID_Y_EN: 0
; COMPUTE_PGM_RSRC2:TGID_Z_EN: 0
; COMPUTE_PGM_RSRC2:TIDIG_COMP_CNT: 0
	.type	__hip_cuid_df961fb0af61339b,@object ; @__hip_cuid_df961fb0af61339b
	.section	.bss,"aw",@nobits
	.globl	__hip_cuid_df961fb0af61339b
__hip_cuid_df961fb0af61339b:
	.byte	0                               ; 0x0
	.size	__hip_cuid_df961fb0af61339b, 1

	.ident	"AMD clang version 19.0.0git (https://github.com/RadeonOpenCompute/llvm-project roc-6.4.0 25133 c7fe45cf4b819c5991fe208aaa96edf142730f1d)"
	.section	".note.GNU-stack","",@progbits
	.addrsig
	.addrsig_sym __hip_cuid_df961fb0af61339b
	.amdgpu_metadata
---
amdhsa.kernels:
  - .args:
      - .actual_access:  read_only
        .address_space:  global
        .offset:         0
        .size:           8
        .value_kind:     global_buffer
      - .actual_access:  read_only
        .address_space:  global
        .offset:         8
        .size:           8
        .value_kind:     global_buffer
      - .actual_access:  read_only
        .address_space:  global
        .offset:         16
        .size:           8
        .value_kind:     global_buffer
      - .actual_access:  read_only
        .address_space:  global
        .offset:         24
        .size:           8
        .value_kind:     global_buffer
      - .actual_access:  read_only
        .address_space:  global
        .offset:         32
        .size:           8
        .value_kind:     global_buffer
      - .offset:         40
        .size:           8
        .value_kind:     by_value
      - .address_space:  global
        .offset:         48
        .size:           8
        .value_kind:     global_buffer
      - .address_space:  global
        .offset:         56
        .size:           8
        .value_kind:     global_buffer
      - .address_space:  global
        .offset:         64
        .size:           8
        .value_kind:     global_buffer
      - .address_space:  global
        .offset:         72
        .size:           8
        .value_kind:     global_buffer
      - .offset:         80
        .size:           4
        .value_kind:     by_value
      - .address_space:  global
        .offset:         88
        .size:           8
        .value_kind:     global_buffer
      - .address_space:  global
        .offset:         96
        .size:           8
        .value_kind:     global_buffer
    .group_segment_fixed_size: 8640
    .kernarg_segment_align: 8
    .kernarg_segment_size: 104
    .language:       OpenCL C
    .language_version:
      - 2
      - 0
    .max_flat_workgroup_size: 216
    .name:           bluestein_single_fwd_len1080_dim1_half_op_CI_CI
    .private_segment_fixed_size: 0
    .sgpr_count:     26
    .sgpr_spill_count: 0
    .symbol:         bluestein_single_fwd_len1080_dim1_half_op_CI_CI.kd
    .uniform_work_group_size: 1
    .uses_dynamic_stack: false
    .vgpr_count:     83
    .vgpr_spill_count: 0
    .wavefront_size: 64
amdhsa.target:   amdgcn-amd-amdhsa--gfx906
amdhsa.version:
  - 1
  - 2
...

	.end_amdgpu_metadata
